;; amdgpu-corpus repo=ROCm/rocFFT kind=compiled arch=gfx1201 opt=O3
	.text
	.amdgcn_target "amdgcn-amd-amdhsa--gfx1201"
	.amdhsa_code_object_version 6
	.protected	bluestein_single_back_len1176_dim1_dp_op_CI_CI ; -- Begin function bluestein_single_back_len1176_dim1_dp_op_CI_CI
	.globl	bluestein_single_back_len1176_dim1_dp_op_CI_CI
	.p2align	8
	.type	bluestein_single_back_len1176_dim1_dp_op_CI_CI,@function
bluestein_single_back_len1176_dim1_dp_op_CI_CI: ; @bluestein_single_back_len1176_dim1_dp_op_CI_CI
; %bb.0:
	s_load_b128 s[12:15], s[0:1], 0x28
	v_mul_u32_u24_e32 v1, 0x493, v0
	s_mov_b32 s2, exec_lo
	v_mov_b32_e32 v6, 0
	s_delay_alu instid0(VALU_DEP_2) | instskip(NEXT) | instid1(VALU_DEP_1)
	v_lshrrev_b32_e32 v1, 16, v1
	v_add_nc_u32_e32 v5, ttmp9, v1
	s_wait_kmcnt 0x0
	s_delay_alu instid0(VALU_DEP_1)
	v_cmpx_gt_u64_e64 s[12:13], v[5:6]
	s_cbranch_execz .LBB0_31
; %bb.1:
	s_load_b128 s[4:7], s[0:1], 0x18
	v_mul_lo_u16 v1, v1, 56
	v_mov_b32_e32 v6, v5
	s_movk_i32 s2, 0xfdec
	s_mov_b32 s3, -1
	s_delay_alu instid0(VALU_DEP_2)
	v_sub_nc_u16 v2, v0, v1
	scratch_store_b64 off, v[6:7], off offset:28 ; 8-byte Folded Spill
	s_wait_kmcnt 0x0
	s_load_b128 s[8:11], s[4:5], 0x0
	s_wait_kmcnt 0x0
	v_mad_co_u64_u32 v[0:1], null, s10, v5, 0
	s_mul_u64 s[4:5], s[8:9], 0x24c
	s_mul_u64 s[2:3], s[8:9], s[2:3]
	s_lshl_b64 s[12:13], s[4:5], 4
	s_lshl_b64 s[2:3], s[2:3], 4
	s_delay_alu instid0(VALU_DEP_1) | instskip(SKIP_2) | instid1(VALU_DEP_2)
	v_mad_co_u64_u32 v[5:6], null, s11, v5, v[1:2]
	v_and_b32_e32 v162, 0xffff, v2
	s_load_b64 s[10:11], s[0:1], 0x0
	v_mov_b32_e32 v1, v5
	s_delay_alu instid0(VALU_DEP_2)
	v_mad_co_u64_u32 v[3:4], null, s8, v162, 0
	v_lshlrev_b32_e32 v72, 4, v162
	s_wait_kmcnt 0x0
	s_clause 0x1
	global_load_b128 v[152:155], v72, s[10:11]
	global_load_b128 v[231:234], v72, s[10:11] offset:896
	v_mad_co_u64_u32 v[6:7], null, s9, v162, v[4:5]
	v_lshlrev_b64_e32 v[0:1], 4, v[0:1]
	s_clause 0x5
	global_load_b128 v[235:238], v72, s[10:11] offset:9408
	global_load_b128 v[227:230], v72, s[10:11] offset:10304
	;; [unrolled: 1-line block ×6, first 2 shown]
	v_mov_b32_e32 v4, v6
	v_add_co_u32 v9, vcc_lo, s14, v0
	v_add_co_ci_u32_e32 v10, vcc_lo, s15, v1, vcc_lo
	s_delay_alu instid0(VALU_DEP_3) | instskip(NEXT) | instid1(VALU_DEP_1)
	v_lshlrev_b64_e32 v[3:4], 4, v[3:4]
	v_add_co_u32 v0, vcc_lo, v9, v3
	s_wait_alu 0xfffd
	s_delay_alu instid0(VALU_DEP_2) | instskip(SKIP_1) | instid1(VALU_DEP_3)
	v_add_co_ci_u32_e32 v1, vcc_lo, v10, v4, vcc_lo
	v_or_b32_e32 v4, 0x1c0, v162
	v_add_co_u32 v11, vcc_lo, v0, s12
	s_wait_alu 0xfffd
	s_delay_alu instid0(VALU_DEP_3) | instskip(NEXT) | instid1(VALU_DEP_3)
	v_add_co_ci_u32_e32 v12, vcc_lo, s13, v1, vcc_lo
	v_mad_co_u64_u32 v[7:8], null, s8, v4, 0
	s_delay_alu instid0(VALU_DEP_3) | instskip(SKIP_1) | instid1(VALU_DEP_3)
	v_add_co_u32 v15, vcc_lo, v11, s2
	s_wait_alu 0xfffd
	v_add_co_ci_u32_e32 v16, vcc_lo, s3, v12, vcc_lo
	scratch_store_b32 off, v4, off offset:36 ; 4-byte Folded Spill
	v_add_co_u32 v19, vcc_lo, v15, s12
	s_wait_alu 0xfffd
	v_add_co_ci_u32_e32 v20, vcc_lo, s13, v16, vcc_lo
	v_mov_b32_e32 v3, v8
	s_delay_alu instid0(VALU_DEP_3) | instskip(SKIP_1) | instid1(VALU_DEP_3)
	v_add_co_u32 v23, vcc_lo, v19, s2
	s_wait_alu 0xfffd
	v_add_co_ci_u32_e32 v24, vcc_lo, s3, v20, vcc_lo
	s_delay_alu instid0(VALU_DEP_3) | instskip(NEXT) | instid1(VALU_DEP_3)
	v_mad_co_u64_u32 v[3:4], null, s9, v4, v[3:4]
	v_add_co_u32 v27, vcc_lo, v23, s12
	s_wait_alu 0xfffd
	s_delay_alu instid0(VALU_DEP_3)
	v_add_co_ci_u32_e32 v28, vcc_lo, s13, v24, vcc_lo
	s_clause 0x1
	global_load_b128 v[203:206], v72, s[10:11] offset:3584
	global_load_b128 v[167:170], v72, s[10:11] offset:4480
	v_add_co_u32 v31, vcc_lo, v27, s2
	s_wait_alu 0xfffd
	v_add_co_ci_u32_e32 v32, vcc_lo, s3, v28, vcc_lo
	v_mov_b32_e32 v8, v3
	s_delay_alu instid0(VALU_DEP_3) | instskip(SKIP_1) | instid1(VALU_DEP_3)
	v_add_co_u32 v35, vcc_lo, v31, s12
	s_wait_alu 0xfffd
	v_add_co_ci_u32_e32 v36, vcc_lo, s13, v32, vcc_lo
	global_load_b128 v[3:6], v[0:1], off
	v_add_co_u32 v39, vcc_lo, v35, s2
	s_wait_alu 0xfffd
	v_add_co_ci_u32_e32 v40, vcc_lo, s3, v36, vcc_lo
	v_lshlrev_b64_e32 v[7:8], 4, v[7:8]
	s_delay_alu instid0(VALU_DEP_3) | instskip(SKIP_1) | instid1(VALU_DEP_3)
	v_add_co_u32 v43, vcc_lo, v39, s12
	s_wait_alu 0xfffd
	v_add_co_ci_u32_e32 v44, vcc_lo, s13, v40, vcc_lo
	s_delay_alu instid0(VALU_DEP_2) | instskip(SKIP_1) | instid1(VALU_DEP_2)
	v_add_co_u32 v47, vcc_lo, v43, s2
	s_wait_alu 0xfffd
	v_add_co_ci_u32_e32 v48, vcc_lo, s3, v44, vcc_lo
	s_delay_alu instid0(VALU_DEP_2) | instskip(SKIP_1) | instid1(VALU_DEP_2)
	;; [unrolled: 4-line block ×5, first 2 shown]
	v_add_co_u32 v63, vcc_lo, v0, s2
	s_wait_alu 0xfffd
	v_add_co_ci_u32_e32 v64, vcc_lo, s3, v1, vcc_lo
	v_add_co_u32 v7, vcc_lo, v9, v7
	s_wait_alu 0xfffd
	v_add_co_ci_u32_e32 v8, vcc_lo, v10, v8, vcc_lo
	;; [unrolled: 3-line block ×3, first 2 shown]
	s_clause 0x2
	global_load_b128 v[207:210], v72, s[10:11] offset:12992
	global_load_b128 v[179:182], v72, s[10:11] offset:13888
	;; [unrolled: 1-line block ×3, first 2 shown]
	s_clause 0x2
	global_load_b128 v[7:10], v[7:8], off
	global_load_b128 v[11:14], v[11:12], off
	;; [unrolled: 1-line block ×3, first 2 shown]
	s_clause 0x1
	global_load_b128 v[187:190], v72, s[10:11] offset:5376
	global_load_b128 v[175:178], v72, s[10:11] offset:6272
	s_clause 0x1
	global_load_b128 v[19:22], v[19:20], off
	global_load_b128 v[23:26], v[23:24], off
	;; [unrolled: 1-line block ×3, first 2 shown]
	s_clause 0x1
	global_load_b128 v[191:194], v72, s[10:11] offset:14784
	global_load_b128 v[183:186], v72, s[10:11] offset:15680
	global_load_b128 v[31:34], v[31:32], off
	global_load_b128 v[35:38], v[35:36], off
	v_mad_co_u64_u32 v[73:74], null, 0x380, s8, v[67:68]
	s_delay_alu instid0(VALU_DEP_1) | instskip(NEXT) | instid1(VALU_DEP_2)
	v_mov_b32_e32 v41, v74
	v_add_co_u32 v78, vcc_lo, v73, s2
	s_delay_alu instid0(VALU_DEP_2)
	v_mad_co_u64_u32 v[65:66], null, 0x380, s9, v[41:42]
	global_load_b128 v[171:174], v72, s[10:11] offset:16576
	global_load_b128 v[39:42], v[39:40], off
	global_load_b128 v[43:46], v[43:44], off
	;; [unrolled: 1-line block ×7, first 2 shown]
	v_mov_b32_e32 v74, v65
	global_load_b128 v[63:66], v[63:64], off
	s_wait_alu 0xfffd
	v_add_co_ci_u32_e32 v79, vcc_lo, s3, v74, vcc_lo
	v_add_co_u32 v0, vcc_lo, v78, s12
	s_wait_alu 0xfffd
	s_delay_alu instid0(VALU_DEP_2)
	v_add_co_ci_u32_e32 v1, vcc_lo, s13, v79, vcc_lo
	global_load_b128 v[74:77], v[73:74], off
	global_load_b128 v[195:198], v72, s[10:11] offset:8064
	global_load_b128 v[78:81], v[78:79], off
	global_load_b128 v[199:202], v72, s[10:11] offset:17472
	global_load_b128 v[82:85], v[0:1], off
	v_cmp_gt_u16_e32 vcc_lo, 28, v2
	s_wait_loadcnt 0x27
	scratch_store_b128 off, v[152:155], off offset:344 ; 16-byte Folded Spill
	s_wait_loadcnt 0x26
	scratch_store_b128 off, v[231:234], off offset:312 ; 16-byte Folded Spill
	;; [unrolled: 2-line block ×5, first 2 shown]
	s_wait_loadcnt 0x21
	s_clause 0x1
	scratch_store_b128 off, v[219:222], off offset:264
	scratch_store_b128 off, v[215:218], off offset:248
	s_wait_loadcnt 0x20
	scratch_store_b128 off, v[211:214], off offset:232 ; 16-byte Folded Spill
	s_wait_loadcnt 0x1f
	scratch_store_b128 off, v[203:206], off offset:200 ; 16-byte Folded Spill
	s_wait_loadcnt 0x1e
	scratch_store_b128 off, v[167:170], off offset:56 ; 16-byte Folded Spill
	s_wait_loadcnt 0x1d
	v_mul_f64_e32 v[86:87], v[5:6], v[154:155]
	v_mul_f64_e32 v[88:89], v[3:4], v[154:155]
	s_delay_alu instid0(VALU_DEP_2)
	v_fma_f64 v[3:4], v[3:4], v[152:153], v[86:87]
	s_wait_loadcnt 0x17
	v_mul_f64_e32 v[98:99], v[17:18], v[233:234]
	v_mul_f64_e32 v[100:101], v[15:16], v[233:234]
	;; [unrolled: 1-line block ×3, first 2 shown]
	scratch_store_b128 off, v[163:166], off offset:40 ; 16-byte Folded Spill
	v_mul_f64_e32 v[90:91], v[9:10], v[165:166]
	v_mul_f64_e32 v[92:93], v[7:8], v[165:166]
	;; [unrolled: 1-line block ×3, first 2 shown]
	v_fma_f64 v[5:6], v[5:6], v[152:153], -v[88:89]
	s_wait_loadcnt 0x14
	v_mul_f64_e32 v[102:103], v[21:22], v[229:230]
	v_mul_f64_e32 v[104:105], v[19:20], v[229:230]
	s_wait_loadcnt 0x13
	v_mul_f64_e32 v[106:107], v[25:26], v[225:226]
	v_mul_f64_e32 v[108:109], v[23:24], v[225:226]
	s_wait_loadcnt 0xf
	v_mul_f64_e32 v[114:115], v[33:34], v[217:218]
	v_mul_f64_e32 v[116:117], v[31:32], v[217:218]
	v_mul_f64_e32 v[110:111], v[29:30], v[221:222]
	v_mul_f64_e32 v[112:113], v[27:28], v[221:222]
	s_wait_loadcnt 0xe
	v_mul_f64_e32 v[118:119], v[37:38], v[213:214]
	v_mul_f64_e32 v[120:121], v[35:36], v[213:214]
	s_wait_loadcnt 0xc
	v_mul_f64_e32 v[86:87], v[41:42], v[205:206]
	v_mul_f64_e32 v[122:123], v[39:40], v[205:206]
	s_wait_loadcnt 0xa
	v_mul_f64_e32 v[128:129], v[49:50], v[169:170]
	v_mul_f64_e32 v[130:131], v[47:48], v[169:170]
	;; [unrolled: 1-line block ×4, first 2 shown]
	s_wait_loadcnt 0x9
	v_mul_f64_e32 v[132:133], v[53:54], v[181:182]
	v_mul_f64_e32 v[134:135], v[51:52], v[181:182]
	s_wait_loadcnt 0x8
	v_mul_f64_e32 v[136:137], v[57:58], v[189:190]
	v_mul_f64_e32 v[138:139], v[55:56], v[189:190]
	s_wait_loadcnt 0x7
	v_mul_f64_e32 v[140:141], v[61:62], v[193:194]
	s_wait_loadcnt 0x5
	v_mul_f64_e32 v[144:145], v[65:66], v[177:178]
	v_mul_f64_e32 v[146:147], v[63:64], v[177:178]
	;; [unrolled: 1-line block ×5, first 2 shown]
	s_clause 0x2
	scratch_store_b128 off, v[207:210], off offset:216
	scratch_store_b128 off, v[179:182], off offset:104
	;; [unrolled: 1-line block ×3, first 2 shown]
	s_wait_loadcnt 0x4
	v_mul_f64_e32 v[88:89], v[76:77], v[173:174]
	s_wait_loadcnt 0x2
	v_mul_f64_e32 v[154:155], v[80:81], v[197:198]
	v_mul_f64_e32 v[156:157], v[78:79], v[197:198]
	;; [unrolled: 1-line block ×3, first 2 shown]
	s_wait_loadcnt 0x0
	v_mul_f64_e32 v[158:159], v[84:85], v[201:202]
	v_mul_f64_e32 v[160:161], v[82:83], v[201:202]
	v_fma_f64 v[7:8], v[7:8], v[163:164], v[90:91]
	v_fma_f64 v[9:10], v[9:10], v[163:164], -v[92:93]
	v_fma_f64 v[15:16], v[15:16], v[231:232], v[98:99]
	v_fma_f64 v[17:18], v[17:18], v[231:232], -v[100:101]
	;; [unrolled: 2-line block ×16, first 2 shown]
	v_fma_f64 v[74:75], v[74:75], v[171:172], v[88:89]
	v_fma_f64 v[78:79], v[78:79], v[195:196], v[154:155]
	v_fma_f64 v[80:81], v[80:81], v[195:196], -v[156:157]
	v_fma_f64 v[76:77], v[76:77], v[171:172], -v[152:153]
	v_fma_f64 v[82:83], v[82:83], v[199:200], v[158:159]
	v_fma_f64 v[84:85], v[84:85], v[199:200], -v[160:161]
	s_clause 0x5
	scratch_store_b128 off, v[187:190], off offset:136
	scratch_store_b128 off, v[191:194], off offset:152
	;; [unrolled: 1-line block ×6, first 2 shown]
	s_load_b64 s[8:9], s[0:1], 0x38
	s_load_b128 s[4:7], s[6:7], 0x0
	v_add_co_u32 v86, s14, s10, v72
	s_wait_alu 0xf1ff
	v_add_co_ci_u32_e64 v87, null, s11, 0, s14
	scratch_store_b64 off, v[86:87], off    ; 8-byte Folded Spill
	ds_store_b128 v72, v[3:6]
	ds_store_b128 v72, v[15:18] offset:896
	ds_store_b128 v72, v[11:14] offset:9408
	;; [unrolled: 1-line block ×19, first 2 shown]
	s_and_saveexec_b32 s14, vcc_lo
	s_cbranch_execz .LBB0_3
; %bb.2:
	v_add_co_u32 v0, s2, v0, s2
	s_wait_alu 0xf1ff
	v_add_co_ci_u32_e64 v1, s2, s3, v1, s2
	s_delay_alu instid0(VALU_DEP_2) | instskip(SKIP_1) | instid1(VALU_DEP_2)
	v_add_co_u32 v12, s2, v0, s12
	s_wait_alu 0xf1ff
	v_add_co_ci_u32_e64 v13, s2, s13, v1, s2
	global_load_b128 v[0:3], v[0:1], off
	scratch_load_b64 v[8:9], off, off       ; 8-byte Folded Reload
	s_wait_loadcnt 0x0
	s_clause 0x1
	global_load_b128 v[4:7], v[8:9], off offset:8960
	global_load_b128 v[8:11], v[8:9], off offset:18368
	global_load_b128 v[12:15], v[12:13], off
	s_wait_loadcnt 0x2
	v_mul_f64_e32 v[16:17], v[2:3], v[6:7]
	v_mul_f64_e32 v[6:7], v[0:1], v[6:7]
	s_wait_loadcnt 0x0
	v_mul_f64_e32 v[18:19], v[14:15], v[10:11]
	v_mul_f64_e32 v[10:11], v[12:13], v[10:11]
	s_delay_alu instid0(VALU_DEP_4) | instskip(NEXT) | instid1(VALU_DEP_4)
	v_fma_f64 v[0:1], v[0:1], v[4:5], v[16:17]
	v_fma_f64 v[2:3], v[2:3], v[4:5], -v[6:7]
	s_delay_alu instid0(VALU_DEP_4) | instskip(NEXT) | instid1(VALU_DEP_4)
	v_fma_f64 v[4:5], v[12:13], v[8:9], v[18:19]
	v_fma_f64 v[6:7], v[14:15], v[8:9], -v[10:11]
	ds_store_b128 v72, v[0:3] offset:8960
	ds_store_b128 v72, v[4:7] offset:18368
.LBB0_3:
	s_wait_alu 0xfffe
	s_or_b32 exec_lo, exec_lo, s14
	global_wb scope:SCOPE_SE
	s_wait_storecnt_dscnt 0x0
	s_wait_kmcnt 0x0
	s_barrier_signal -1
	s_barrier_wait -1
	global_inv scope:SCOPE_SE
	ds_load_b128 v[36:39], v72
	ds_load_b128 v[40:43], v72 offset:896
	ds_load_b128 v[92:95], v72 offset:9408
	;; [unrolled: 1-line block ×19, first 2 shown]
                                        ; implicit-def: $vgpr12_vgpr13
                                        ; implicit-def: $vgpr48_vgpr49
	s_and_saveexec_b32 s2, vcc_lo
	s_cbranch_execz .LBB0_5
; %bb.4:
	ds_load_b128 v[12:15], v72 offset:8960
	ds_load_b128 v[48:51], v72 offset:18368
.LBB0_5:
	s_wait_alu 0xfffe
	s_or_b32 exec_lo, exec_lo, s2
	s_wait_dscnt 0x11
	v_add_f64_e64 v[74:75], v[36:37], -v[92:93]
	v_add_f64_e64 v[76:77], v[38:39], -v[94:95]
	s_wait_dscnt 0xd
	v_add_f64_e64 v[68:69], v[44:45], -v[68:69]
	v_add_f64_e64 v[70:71], v[46:47], -v[70:71]
	;; [unrolled: 3-line block ×3, first 2 shown]
	v_add_f64_e64 v[88:89], v[40:41], -v[88:89]
	v_add_f64_e64 v[90:91], v[42:43], -v[90:91]
	s_wait_dscnt 0x9
	v_add_f64_e64 v[92:93], v[32:33], -v[80:81]
	v_add_f64_e64 v[94:95], v[34:35], -v[82:83]
	s_wait_dscnt 0x8
	v_add_f64_e64 v[96:97], v[24:25], -v[64:65]
	v_add_f64_e64 v[98:99], v[26:27], -v[66:67]
	s_wait_dscnt 0x5
	v_add_f64_e64 v[100:101], v[20:21], -v[60:61]
	v_add_f64_e64 v[102:103], v[22:23], -v[62:63]
	s_wait_dscnt 0x4
	v_add_f64_e64 v[104:105], v[16:17], -v[56:57]
	v_add_f64_e64 v[106:107], v[18:19], -v[58:59]
	s_wait_dscnt 0x1
	v_add_f64_e64 v[108:109], v[4:5], -v[52:53]
	v_add_f64_e64 v[110:111], v[6:7], -v[54:55]
	s_wait_dscnt 0x0
	v_add_f64_e64 v[112:113], v[8:9], -v[0:1]
	v_add_f64_e64 v[114:115], v[10:11], -v[2:3]
	;; [unrolled: 1-line block ×4, first 2 shown]
	v_add_co_u32 v64, s2, v162, 56
	s_wait_alu 0xf1ff
	v_add_co_ci_u32_e64 v65, null, 0, 0, s2
	v_add_co_u32 v60, s2, 0x70, v162
	v_add_co_u32 v56, null, 0xa8, v162
	s_load_b64 s[0:1], s[0:1], 0x8
	v_add_co_u32 v48, null, 0xe0, v162
	v_lshlrev_b32_e32 v50, 1, v162
	v_lshlrev_b32_e32 v49, 5, v162
	;; [unrolled: 1-line block ×3, first 2 shown]
	global_wb scope:SCOPE_SE
	s_wait_kmcnt 0x0
	s_barrier_signal -1
	v_fma_f64 v[36:37], v[36:37], 2.0, -v[74:75]
	v_fma_f64 v[38:39], v[38:39], 2.0, -v[76:77]
	;; [unrolled: 1-line block ×22, first 2 shown]
	v_add_co_u32 v44, null, 0x118, v162
	v_lshlrev_b32_e32 v12, 5, v60
	v_lshlrev_b32_e32 v13, 5, v56
	v_add_co_u32 v45, null, 0x150, v162
	s_barrier_wait -1
	global_inv scope:SCOPE_SE
	scratch_store_b32 off, v49, off offset:372 ; 4-byte Folded Spill
	v_add_co_u32 v58, null, 0x230, v162
	v_lshlrev_b32_e32 v15, 5, v45
	v_lshlrev_b32_e32 v46, 1, v64
	;; [unrolled: 1-line block ×3, first 2 shown]
	v_add_co_ci_u32_e64 v61, null, 0, 0, s2
	ds_store_b128 v49, v[36:39]
	ds_store_b128 v49, v[74:77] offset:16
	ds_store_b128 v55, v[40:43]
	ds_store_b128 v55, v[88:91] offset:16
	;; [unrolled: 2-line block ×3, first 2 shown]
	s_clause 0x1
	scratch_store_b32 off, v12, off offset:380
	scratch_store_b32 off, v13, off offset:388
	v_lshlrev_b32_e32 v12, 5, v48
	ds_store_b128 v13, v[28:31]
	ds_store_b128 v13, v[84:87] offset:16
	v_lshlrev_b32_e32 v13, 5, v44
	v_add_nc_u32_e32 v53, 0x310, v50
	ds_store_b128 v12, v[32:35]
	ds_store_b128 v12, v[92:95] offset:16
	scratch_store_b32 off, v12, off offset:360 ; 4-byte Folded Spill
	ds_store_b128 v13, v[24:27]
	ds_store_b128 v13, v[96:99] offset:16
	v_lshlrev_b32_e32 v14, 4, v53
	s_clause 0x2
	scratch_store_b32 off, v13, off offset:364
	scratch_store_b32 off, v55, off offset:376
	;; [unrolled: 1-line block ×3, first 2 shown]
	v_lshlrev_b32_e32 v12, 4, v50
	v_add_nc_u32_e32 v55, 0x3f0, v50
	v_or_b32_e32 v13, 0x1c0, v162
	v_lshlrev_b32_e32 v49, 1, v56
	v_lshlrev_b32_e32 v51, 1, v48
	;; [unrolled: 1-line block ×4, first 2 shown]
	ds_store_b128 v15, v[20:23]
	ds_store_b128 v15, v[100:103] offset:16
	v_lshlrev_b32_e32 v15, 5, v13
	ds_store_b128 v12, v[16:19] offset:12544
	ds_store_b128 v14, v[104:107] offset:16
	scratch_store_b32 off, v14, off offset:368 ; 4-byte Folded Spill
	v_lshlrev_b32_e32 v57, 1, v13
	v_lshlrev_b32_e32 v14, 4, v55
	;; [unrolled: 1-line block ×3, first 2 shown]
	ds_store_b128 v15, v[4:7]
	s_clause 0x1
	scratch_store_b32 off, v15, off offset:396
	scratch_store_b32 off, v13, off offset:728
	ds_store_b128 v15, v[108:111] offset:16
	ds_store_b128 v12, v[8:11] offset:16128
	scratch_store_b32 off, v14, off offset:392 ; 4-byte Folded Spill
	ds_store_b128 v14, v[112:115] offset:16
	s_and_saveexec_b32 s2, vcc_lo
	s_cbranch_execz .LBB0_7
; %bb.6:
	v_lshlrev_b32_e32 v4, 5, v58
	ds_store_b128 v4, v[80:83]
	ds_store_b128 v4, v[0:3] offset:16
.LBB0_7:
	s_wait_alu 0xfffe
	s_or_b32 exec_lo, exec_lo, s2
	global_wb scope:SCOPE_SE
	s_wait_storecnt_dscnt 0x0
	s_barrier_signal -1
	s_barrier_wait -1
	global_inv scope:SCOPE_SE
	ds_load_b128 v[88:91], v72
	ds_load_b128 v[96:99], v72 offset:896
	ds_load_b128 v[8:11], v72 offset:9408
	ds_load_b128 v[4:7], v72 offset:10304
	ds_load_b128 v[100:103], v72 offset:1792
	ds_load_b128 v[104:107], v72 offset:2688
	ds_load_b128 v[16:19], v72 offset:11200
	ds_load_b128 v[12:15], v72 offset:12096
	ds_load_b128 v[108:111], v72 offset:3584
	ds_load_b128 v[112:115], v72 offset:4480
	ds_load_b128 v[24:27], v72 offset:12992
	ds_load_b128 v[20:23], v72 offset:13888
	ds_load_b128 v[116:119], v72 offset:5376
	ds_load_b128 v[120:123], v72 offset:6272
	ds_load_b128 v[32:35], v72 offset:14784
	ds_load_b128 v[28:31], v72 offset:15680
	ds_load_b128 v[124:127], v72 offset:7168
	ds_load_b128 v[128:131], v72 offset:8064
	ds_load_b128 v[40:43], v72 offset:16576
	ds_load_b128 v[36:39], v72 offset:17472
	s_and_saveexec_b32 s2, vcc_lo
	s_cbranch_execz .LBB0_9
; %bb.8:
	ds_load_b128 v[80:83], v72 offset:8960
	ds_load_b128 v[0:3], v72 offset:18368
.LBB0_9:
	s_wait_alu 0xfffe
	s_or_b32 exec_lo, exec_lo, s2
	v_and_b32_e32 v79, 1, v162
	s_delay_alu instid0(VALU_DEP_1)
	v_lshlrev_b32_e32 v59, 4, v79
	v_and_or_b32 v63, 0x3fc, v51, v79
	v_and_or_b32 v71, 0x3fc, v53, v79
	scratch_store_b32 off, v79, off offset:724 ; 4-byte Folded Spill
	global_load_b128 v[84:87], v59, s[0:1]
	v_and_or_b32 v59, 0xfc, v46, v79
	s_wait_loadcnt_dscnt 0x11
	v_mul_f64_e32 v[61:62], v[10:11], v[86:87]
	v_mul_f64_e32 v[65:66], v[8:9], v[86:87]
	s_wait_dscnt 0x0
	v_mul_f64_e32 v[154:155], v[2:3], v[86:87]
	v_mul_f64_e32 v[156:157], v[0:1], v[86:87]
	;; [unrolled: 1-line block ×20, first 2 shown]
	v_fma_f64 v[8:9], v[8:9], v[84:85], -v[61:62]
	v_fma_f64 v[10:11], v[10:11], v[84:85], v[65:66]
	v_fma_f64 v[61:62], v[0:1], v[84:85], -v[154:155]
	v_fma_f64 v[65:66], v[2:3], v[84:85], v[156:157]
	;; [unrolled: 2-line block ×11, first 2 shown]
	v_and_or_b32 v69, 0x2fc, v52, v79
	v_and_or_b32 v70, 0x3fc, v54, v79
	;; [unrolled: 1-line block ×4, first 2 shown]
	v_add_f64_e64 v[0:1], v[88:89], -v[8:9]
	v_add_f64_e64 v[2:3], v[90:91], -v[10:11]
	;; [unrolled: 1-line block ×22, first 2 shown]
	v_lshlrev_b32_e32 v40, 1, v58
	v_and_or_b32 v58, 0x7c, v50, v79
	v_and_or_b32 v61, 0x1fc, v47, v79
	;; [unrolled: 1-line block ×3, first 2 shown]
	v_lshlrev_b32_e32 v79, 4, v63
	scratch_store_b32 off, v40, off offset:8 ; 4-byte Folded Spill
	v_lshlrev_b32_e32 v63, 4, v69
	global_wb scope:SCOPE_SE
	s_wait_storecnt 0x0
	s_barrier_signal -1
	s_barrier_wait -1
	global_inv scope:SCOPE_SE
	v_fma_f64 v[40:41], v[88:89], 2.0, -v[0:1]
	v_fma_f64 v[42:43], v[90:91], 2.0, -v[2:3]
	;; [unrolled: 1-line block ×22, first 2 shown]
	v_lshlrev_b32_e32 v83, 4, v58
	v_lshlrev_b32_e32 v82, 4, v59
	;; [unrolled: 1-line block ×8, first 2 shown]
	scratch_store_b32 off, v83, off offset:460 ; 4-byte Folded Spill
	ds_store_b128 v83, v[40:43]
	ds_store_b128 v83, v[0:3] offset:32
	ds_store_b128 v82, v[65:68]
	scratch_store_b32 off, v82, off offset:456 ; 4-byte Folded Spill
	ds_store_b128 v82, v[4:7] offset:32
	ds_store_b128 v81, v[75:78]
	scratch_store_b32 off, v81, off offset:440 ; 4-byte Folded Spill
	;; [unrolled: 3-line block ×9, first 2 shown]
	ds_store_b128 v58, v[36:39] offset:32
	s_and_saveexec_b32 s2, vcc_lo
	s_cbranch_execz .LBB0_11
; %bb.10:
	scratch_load_b32 v0, off, off offset:8  ; 4-byte Folded Reload
	v_and_b32_e32 v1, 1, v162
	s_wait_loadcnt 0x0
	s_delay_alu instid0(VALU_DEP_1) | instskip(NEXT) | instid1(VALU_DEP_1)
	v_and_or_b32 v0, 0x4fc, v0, v1
	v_lshlrev_b32_e32 v0, 4, v0
	ds_store_b128 v0, v[88:91]
	ds_store_b128 v0, v[92:95] offset:32
.LBB0_11:
	s_wait_alu 0xfffe
	s_or_b32 exec_lo, exec_lo, s2
	global_wb scope:SCOPE_SE
	s_wait_storecnt_dscnt 0x0
	s_barrier_signal -1
	s_barrier_wait -1
	global_inv scope:SCOPE_SE
	ds_load_b128 v[132:135], v72
	ds_load_b128 v[128:131], v72 offset:896
	ds_load_b128 v[36:39], v72 offset:9408
	ds_load_b128 v[28:31], v72 offset:10304
	ds_load_b128 v[124:127], v72 offset:1792
	ds_load_b128 v[120:123], v72 offset:2688
	ds_load_b128 v[32:35], v72 offset:11200
	ds_load_b128 v[20:23], v72 offset:12096
	ds_load_b128 v[116:119], v72 offset:3584
	ds_load_b128 v[112:115], v72 offset:4480
	ds_load_b128 v[24:27], v72 offset:12992
	ds_load_b128 v[12:15], v72 offset:13888
	ds_load_b128 v[108:111], v72 offset:5376
	ds_load_b128 v[104:107], v72 offset:6272
	ds_load_b128 v[16:19], v72 offset:14784
	ds_load_b128 v[4:7], v72 offset:15680
	ds_load_b128 v[100:103], v72 offset:7168
	ds_load_b128 v[96:99], v72 offset:8064
	ds_load_b128 v[8:11], v72 offset:16576
	ds_load_b128 v[0:3], v72 offset:17472
	s_and_saveexec_b32 s2, vcc_lo
	s_cbranch_execz .LBB0_13
; %bb.12:
	ds_load_b128 v[88:91], v72 offset:8960
	ds_load_b128 v[92:95], v72 offset:18368
.LBB0_13:
	s_wait_alu 0xfffe
	s_or_b32 exec_lo, exec_lo, s2
	v_and_b32_e32 v63, 3, v162
	s_delay_alu instid0(VALU_DEP_1)
	v_lshlrev_b32_e32 v40, 4, v63
	v_and_or_b32 v50, 0x78, v50, v63
	global_load_b128 v[80:83], v40, s[0:1] offset:32
	v_lshlrev_b32_e32 v50, 4, v50
	global_wb scope:SCOPE_SE
	s_wait_loadcnt_dscnt 0x0
	s_barrier_signal -1
	s_barrier_wait -1
	global_inv scope:SCOPE_SE
	scratch_store_b32 off, v63, off offset:720 ; 4-byte Folded Spill
	v_mul_f64_e32 v[40:41], v[38:39], v[82:83]
	s_delay_alu instid0(VALU_DEP_1) | instskip(SKIP_1) | instid1(VALU_DEP_1)
	v_fma_f64 v[40:41], v[36:37], v[80:81], -v[40:41]
	v_mul_f64_e32 v[36:37], v[36:37], v[82:83]
	v_fma_f64 v[36:37], v[38:39], v[80:81], v[36:37]
	v_mul_f64_e32 v[38:39], v[30:31], v[82:83]
	s_delay_alu instid0(VALU_DEP_1) | instskip(SKIP_1) | instid1(VALU_DEP_1)
	v_fma_f64 v[38:39], v[28:29], v[80:81], -v[38:39]
	v_mul_f64_e32 v[28:29], v[28:29], v[82:83]
	v_fma_f64 v[28:29], v[30:31], v[80:81], v[28:29]
	v_mul_f64_e32 v[30:31], v[34:35], v[82:83]
	s_delay_alu instid0(VALU_DEP_1) | instskip(SKIP_1) | instid1(VALU_DEP_1)
	v_fma_f64 v[30:31], v[32:33], v[80:81], -v[30:31]
	v_mul_f64_e32 v[32:33], v[32:33], v[82:83]
	v_fma_f64 v[32:33], v[34:35], v[80:81], v[32:33]
	v_mul_f64_e32 v[34:35], v[22:23], v[82:83]
	s_delay_alu instid0(VALU_DEP_1) | instskip(SKIP_1) | instid1(VALU_DEP_1)
	v_fma_f64 v[34:35], v[20:21], v[80:81], -v[34:35]
	v_mul_f64_e32 v[20:21], v[20:21], v[82:83]
	v_fma_f64 v[42:43], v[22:23], v[80:81], v[20:21]
	v_mul_f64_e32 v[20:21], v[26:27], v[82:83]
	s_delay_alu instid0(VALU_DEP_1) | instskip(SKIP_2) | instid1(VALU_DEP_2)
	v_fma_f64 v[58:59], v[24:25], v[80:81], -v[20:21]
	v_mul_f64_e32 v[20:21], v[24:25], v[82:83]
	v_add_f64_e64 v[24:25], v[120:121], -v[34:35]
	v_fma_f64 v[61:62], v[26:27], v[80:81], v[20:21]
	v_mul_f64_e32 v[20:21], v[14:15], v[82:83]
	v_add_f64_e64 v[26:27], v[122:123], -v[42:43]
	s_delay_alu instid0(VALU_DEP_3) | instskip(NEXT) | instid1(VALU_DEP_3)
	v_add_f64_e64 v[34:35], v[118:119], -v[61:62]
	v_fma_f64 v[65:66], v[12:13], v[80:81], -v[20:21]
	v_mul_f64_e32 v[12:13], v[12:13], v[82:83]
	s_delay_alu instid0(VALU_DEP_1) | instskip(SKIP_1) | instid1(VALU_DEP_2)
	v_fma_f64 v[67:68], v[14:15], v[80:81], v[12:13]
	v_mul_f64_e32 v[12:13], v[18:19], v[82:83]
	v_add_f64_e64 v[42:43], v[114:115], -v[67:68]
	s_delay_alu instid0(VALU_DEP_2)
	v_fma_f64 v[69:70], v[16:17], v[80:81], -v[12:13]
	v_mul_f64_e32 v[12:13], v[16:17], v[82:83]
	v_add_f64_e64 v[16:17], v[124:125], -v[30:31]
	v_fma_f64 v[30:31], v[122:123], 2.0, -v[26:27]
	v_fma_f64 v[67:68], v[114:115], 2.0, -v[42:43]
	v_add_f64_e64 v[76:77], v[108:109], -v[69:70]
	v_fma_f64 v[73:74], v[18:19], v[80:81], v[12:13]
	v_mul_f64_e32 v[12:13], v[6:7], v[82:83]
	v_add_f64_e64 v[18:19], v[126:127], -v[32:33]
	v_add_f64_e64 v[32:33], v[116:117], -v[58:59]
	v_fma_f64 v[20:21], v[124:125], 2.0, -v[16:17]
	v_add_f64_e64 v[78:79], v[110:111], -v[73:74]
	v_fma_f64 v[136:137], v[4:5], v[80:81], -v[12:13]
	v_mul_f64_e32 v[4:5], v[4:5], v[82:83]
	v_fma_f64 v[22:23], v[126:127], 2.0, -v[18:19]
	s_delay_alu instid0(VALU_DEP_2) | instskip(SKIP_1) | instid1(VALU_DEP_1)
	v_fma_f64 v[138:139], v[6:7], v[80:81], v[4:5]
	v_mul_f64_e32 v[4:5], v[10:11], v[82:83]
	v_fma_f64 v[140:141], v[8:9], v[80:81], -v[4:5]
	v_mul_f64_e32 v[4:5], v[8:9], v[82:83]
	v_add_f64_e64 v[8:9], v[128:129], -v[38:39]
	v_fma_f64 v[38:39], v[118:119], 2.0, -v[34:35]
	s_delay_alu instid0(VALU_DEP_3)
	v_fma_f64 v[142:143], v[10:11], v[80:81], v[4:5]
	v_mul_f64_e32 v[4:5], v[2:3], v[82:83]
	v_add_f64_e64 v[10:11], v[130:131], -v[28:29]
	v_fma_f64 v[12:13], v[128:129], 2.0, -v[8:9]
	v_fma_f64 v[28:29], v[120:121], 2.0, -v[24:25]
	v_add_f64_e64 v[114:115], v[102:103], -v[142:143]
	v_fma_f64 v[144:145], v[0:1], v[80:81], -v[4:5]
	v_mul_f64_e32 v[0:1], v[0:1], v[82:83]
	v_fma_f64 v[14:15], v[130:131], 2.0, -v[10:11]
	s_delay_alu instid0(VALU_DEP_4) | instskip(NEXT) | instid1(VALU_DEP_3)
	v_fma_f64 v[102:103], v[102:103], 2.0, -v[114:115]
	v_fma_f64 v[146:147], v[2:3], v[80:81], v[0:1]
	v_mul_f64_e32 v[0:1], v[94:95], v[82:83]
	v_add_f64_e64 v[2:3], v[134:135], -v[36:37]
	v_fma_f64 v[36:37], v[116:117], 2.0, -v[32:33]
	v_add_f64_e64 v[116:117], v[96:97], -v[144:145]
	v_add_f64_e64 v[118:119], v[98:99], -v[146:147]
	v_fma_f64 v[148:149], v[92:93], v[80:81], -v[0:1]
	v_mul_f64_e32 v[0:1], v[92:93], v[82:83]
	v_fma_f64 v[6:7], v[134:135], 2.0, -v[2:3]
	v_fma_f64 v[92:93], v[108:109], 2.0, -v[76:77]
	v_add_f64_e64 v[108:109], v[104:105], -v[136:137]
	v_fma_f64 v[96:97], v[96:97], 2.0, -v[116:117]
	v_fma_f64 v[98:99], v[98:99], 2.0, -v[118:119]
	v_fma_f64 v[150:151], v[94:95], v[80:81], v[0:1]
	v_add_f64_e64 v[0:1], v[132:133], -v[40:41]
	v_add_f64_e64 v[40:41], v[112:113], -v[65:66]
	v_fma_f64 v[94:95], v[110:111], 2.0, -v[78:79]
	v_add_f64_e64 v[110:111], v[106:107], -v[138:139]
	v_fma_f64 v[104:105], v[104:105], 2.0, -v[108:109]
	v_fma_f64 v[4:5], v[132:133], 2.0, -v[0:1]
	ds_store_b128 v50, v[0:3] offset:64
	v_and_or_b32 v0, 0xf8, v46, v63
	v_fma_f64 v[65:66], v[112:113], 2.0, -v[40:41]
	v_add_f64_e64 v[112:113], v[100:101], -v[140:141]
	v_add_f64_e64 v[2:3], v[90:91], -v[150:151]
	v_fma_f64 v[106:107], v[106:107], 2.0, -v[110:111]
	v_lshlrev_b32_e32 v0, 4, v0
	scratch_store_b32 off, v0, off offset:476 ; 4-byte Folded Spill
	ds_store_b128 v50, v[4:7]
	ds_store_b128 v0, v[12:15]
	ds_store_b128 v0, v[8:11] offset:64
	v_and_or_b32 v0, 0x1f8, v47, v63
	v_fma_f64 v[100:101], v[100:101], 2.0, -v[112:113]
	s_delay_alu instid0(VALU_DEP_2) | instskip(SKIP_4) | instid1(VALU_DEP_1)
	v_lshlrev_b32_e32 v0, 4, v0
	ds_store_b128 v0, v[20:23]
	ds_store_b128 v0, v[16:19] offset:64
	scratch_store_b32 off, v0, off offset:468 ; 4-byte Folded Spill
	v_and_or_b32 v0, 0x1f8, v49, v63
	v_lshlrev_b32_e32 v0, 4, v0
	ds_store_b128 v0, v[28:31]
	ds_store_b128 v0, v[24:27] offset:64
	scratch_store_b32 off, v0, off offset:464 ; 4-byte Folded Spill
	v_and_or_b32 v0, 0x3f8, v51, v63
	s_delay_alu instid0(VALU_DEP_1) | instskip(SKIP_4) | instid1(VALU_DEP_1)
	v_lshlrev_b32_e32 v0, 4, v0
	ds_store_b128 v0, v[36:39]
	ds_store_b128 v0, v[32:35] offset:64
	scratch_store_b32 off, v0, off offset:452 ; 4-byte Folded Spill
	v_and_or_b32 v0, 0x2f8, v52, v63
	v_lshlrev_b32_e32 v6, 4, v0
	v_add_f64_e64 v[0:1], v[88:89], -v[148:149]
	ds_store_b128 v6, v[65:68]
	s_clause 0x1
	scratch_store_b32 off, v6, off offset:448
	scratch_store_b128 off, v[0:3], off offset:12
	v_and_or_b32 v0, 0x3f8, v54, v63
	v_and_or_b32 v1, 0x3f8, v53, v63
	;; [unrolled: 1-line block ×4, first 2 shown]
	scratch_store_b32 off, v50, off offset:472 ; 4-byte Folded Spill
	v_lshlrev_b32_e32 v5, 4, v0
	v_lshlrev_b32_e32 v4, 4, v1
	v_lshlrev_b32_e32 v1, 4, v2
	v_lshlrev_b32_e32 v0, 4, v3
	ds_store_b128 v6, v[40:43] offset:64
	ds_store_b128 v5, v[92:95]
	scratch_store_b32 off, v5, off offset:444 ; 4-byte Folded Spill
	ds_store_b128 v5, v[76:79] offset:64
	ds_store_b128 v4, v[104:107]
	scratch_store_b32 off, v4, off offset:436 ; 4-byte Folded Spill
	;; [unrolled: 3-line block ×4, first 2 shown]
	ds_store_b128 v0, v[116:119] offset:64
	s_and_saveexec_b32 s2, vcc_lo
	s_cbranch_execz .LBB0_15
; %bb.14:
	s_clause 0x1
	scratch_load_b128 v[6:9], off, off offset:12
	scratch_load_b32 v4, off, off offset:8
	v_and_b32_e32 v5, 3, v162
	s_wait_loadcnt 0x1
	v_fma_f64 v[2:3], v[90:91], 2.0, -v[8:9]
	v_fma_f64 v[0:1], v[88:89], 2.0, -v[6:7]
	s_wait_loadcnt 0x0
	v_and_or_b32 v4, 0x4f8, v4, v5
	s_delay_alu instid0(VALU_DEP_1)
	v_lshlrev_b32_e32 v4, 4, v4
	ds_store_b128 v4, v[0:3]
	ds_store_b128 v4, v[6:9] offset:64
.LBB0_15:
	s_wait_alu 0xfffe
	s_or_b32 exec_lo, exec_lo, s2
	v_and_b32_e32 v0, 7, v162
	global_wb scope:SCOPE_SE
	s_wait_storecnt_dscnt 0x0
	s_barrier_signal -1
	s_barrier_wait -1
	global_inv scope:SCOPE_SE
	v_lshlrev_b32_e32 v1, 5, v0
	s_mov_b32 s2, 0xe8584caa
	s_mov_b32 s3, 0x3febb67a
	;; [unrolled: 1-line block ×3, first 2 shown]
	s_wait_alu 0xfffe
	s_mov_b32 s12, s2
	s_clause 0x1
	global_load_b128 v[92:95], v1, s[0:1] offset:96
	global_load_b128 v[88:91], v1, s[0:1] offset:112
	ds_load_b128 v[96:99], v72 offset:6272
	ds_load_b128 v[100:103], v72 offset:12544
	;; [unrolled: 1-line block ×6, first 2 shown]
	s_mov_b32 s28, 0xe976ee23
	s_mov_b32 s29, 0xbfe11646
	;; [unrolled: 1-line block ×16, first 2 shown]
	ds_load_b128 v[76:79], v72 offset:3584
	s_wait_loadcnt_dscnt 0x106
	v_mul_f64_e32 v[17:18], v[98:99], v[94:95]
	v_mul_f64_e32 v[19:20], v[96:97], v[94:95]
	s_wait_loadcnt_dscnt 0x3
	v_mul_f64_e32 v[29:30], v[7:8], v[90:91]
	v_mul_f64_e32 v[31:32], v[5:6], v[90:91]
	;; [unrolled: 1-line block ×4, first 2 shown]
	s_wait_dscnt 0x2
	v_mul_f64_e32 v[33:34], v[11:12], v[94:95]
	v_mul_f64_e32 v[39:40], v[9:10], v[94:95]
	;; [unrolled: 1-line block ×4, first 2 shown]
	v_fma_f64 v[35:36], v[96:97], v[92:93], -v[17:18]
	v_fma_f64 v[37:38], v[98:99], v[92:93], v[19:20]
	ds_load_b128 v[17:20], v72 offset:8960
	v_fma_f64 v[29:30], v[5:6], v[88:89], -v[29:30]
	v_fma_f64 v[31:32], v[7:8], v[88:89], v[31:32]
	v_fma_f64 v[25:26], v[1:2], v[92:93], -v[25:26]
	v_fma_f64 v[27:28], v[3:4], v[92:93], v[27:28]
	ds_load_b128 v[1:4], v72 offset:15232
	v_fma_f64 v[33:34], v[9:10], v[92:93], -v[33:34]
	s_wait_dscnt 0x3
	v_mul_f64_e32 v[41:42], v[15:16], v[90:91]
	v_fma_f64 v[39:40], v[11:12], v[92:93], v[39:40]
	v_mul_f64_e32 v[46:47], v[13:14], v[90:91]
	v_fma_f64 v[21:22], v[100:101], v[88:89], -v[21:22]
	v_fma_f64 v[23:24], v[102:103], v[88:89], v[23:24]
	s_wait_dscnt 0x1
	v_mul_f64_e32 v[5:6], v[19:20], v[94:95]
	v_mul_f64_e32 v[7:8], v[17:18], v[94:95]
	v_fma_f64 v[41:42], v[13:14], v[88:89], -v[41:42]
	v_fma_f64 v[46:47], v[15:16], v[88:89], v[46:47]
	s_delay_alu instid0(VALU_DEP_4) | instskip(NEXT) | instid1(VALU_DEP_4)
	v_fma_f64 v[49:50], v[17:18], v[92:93], -v[5:6]
	v_fma_f64 v[51:52], v[19:20], v[92:93], v[7:8]
	ds_load_b128 v[5:8], v72 offset:9856
	s_wait_dscnt 0x1
	v_mul_f64_e32 v[9:10], v[3:4], v[90:91]
	v_mul_f64_e32 v[11:12], v[1:2], v[90:91]
	v_add_f64_e32 v[17:18], v[25:26], v[29:30]
	s_wait_dscnt 0x0
	v_mul_f64_e32 v[13:14], v[7:8], v[94:95]
	s_delay_alu instid0(VALU_DEP_4)
	v_fma_f64 v[53:54], v[1:2], v[88:89], -v[9:10]
	v_mul_f64_e32 v[1:2], v[5:6], v[94:95]
	v_fma_f64 v[57:58], v[3:4], v[88:89], v[11:12]
	v_add_f64_e64 v[9:10], v[37:38], -v[23:24]
	v_fma_f64 v[61:62], v[5:6], v[92:93], -v[13:14]
	v_add_f64_e64 v[13:14], v[35:36], -v[21:22]
	v_fma_f64 v[69:70], v[7:8], v[92:93], v[1:2]
	ds_load_b128 v[1:4], v72 offset:16128
	s_wait_dscnt 0x0
	v_mul_f64_e32 v[5:6], v[3:4], v[90:91]
	s_delay_alu instid0(VALU_DEP_1) | instskip(SKIP_1) | instid1(VALU_DEP_1)
	v_fma_f64 v[73:74], v[1:2], v[88:89], -v[5:6]
	v_mul_f64_e32 v[1:2], v[1:2], v[90:91]
	v_fma_f64 v[96:97], v[3:4], v[88:89], v[1:2]
	ds_load_b128 v[1:4], v72 offset:10752
	s_wait_dscnt 0x0
	v_mul_f64_e32 v[5:6], v[3:4], v[94:95]
	s_delay_alu instid0(VALU_DEP_1) | instskip(SKIP_1) | instid1(VALU_DEP_1)
	v_fma_f64 v[112:113], v[1:2], v[92:93], -v[5:6]
	v_mul_f64_e32 v[1:2], v[1:2], v[94:95]
	;; [unrolled: 7-line block ×4, first 2 shown]
	v_fma_f64 v[120:121], v[3:4], v[92:93], v[1:2]
	ds_load_b128 v[1:4], v72 offset:17920
	s_wait_dscnt 0x0
	v_mul_f64_e32 v[5:6], v[3:4], v[90:91]
	s_delay_alu instid0(VALU_DEP_1) | instskip(SKIP_2) | instid1(VALU_DEP_2)
	v_fma_f64 v[126:127], v[1:2], v[88:89], -v[5:6]
	v_mul_f64_e32 v[1:2], v[1:2], v[90:91]
	v_add_f64_e32 v[5:6], v[35:36], v[21:22]
	v_fma_f64 v[122:123], v[3:4], v[88:89], v[1:2]
	ds_load_b128 v[1:4], v72
	s_wait_dscnt 0x0
	v_fma_f64 v[7:8], v[5:6], -0.5, v[1:2]
	v_add_f64_e32 v[5:6], v[37:38], v[23:24]
	v_add_f64_e32 v[1:2], v[1:2], v[35:36]
	s_delay_alu instid0(VALU_DEP_2) | instskip(NEXT) | instid1(VALU_DEP_4)
	v_fma_f64 v[11:12], v[5:6], -0.5, v[3:4]
	v_fma_f64 v[5:6], v[9:10], s[2:3], v[7:8]
	s_wait_alu 0xfffe
	v_fma_f64 v[9:10], v[9:10], s[12:13], v[7:8]
	v_add_f64_e32 v[3:4], v[3:4], v[37:38]
	v_add_f64_e32 v[1:2], v[1:2], v[21:22]
	v_add_f64_e64 v[21:22], v[27:28], -v[31:32]
	v_add_f64_e64 v[37:38], v[39:40], -v[46:47]
	v_fma_f64 v[7:8], v[13:14], s[12:13], v[11:12]
	v_fma_f64 v[11:12], v[13:14], s[2:3], v[11:12]
	ds_load_b128 v[13:16], v72 offset:896
	v_add_f64_e32 v[3:4], v[3:4], v[23:24]
	s_wait_dscnt 0x0
	v_fma_f64 v[19:20], v[17:18], -0.5, v[13:14]
	v_add_f64_e32 v[17:18], v[27:28], v[31:32]
	v_add_f64_e32 v[13:14], v[13:14], v[25:26]
	v_add_f64_e64 v[25:26], v[25:26], -v[29:30]
	s_delay_alu instid0(VALU_DEP_3) | instskip(SKIP_1) | instid1(VALU_DEP_4)
	v_fma_f64 v[23:24], v[17:18], -0.5, v[15:16]
	v_add_f64_e32 v[15:16], v[15:16], v[27:28]
	v_add_f64_e32 v[13:14], v[13:14], v[29:30]
	;; [unrolled: 1-line block ×3, first 2 shown]
	v_fma_f64 v[17:18], v[21:22], s[2:3], v[19:20]
	v_fma_f64 v[21:22], v[21:22], s[12:13], v[19:20]
	;; [unrolled: 1-line block ×4, first 2 shown]
	ds_load_b128 v[25:28], v72 offset:1792
	v_add_f64_e32 v[15:16], v[15:16], v[31:32]
	s_wait_dscnt 0x0
	v_fma_f64 v[31:32], v[29:30], -0.5, v[25:26]
	v_add_f64_e32 v[29:30], v[39:40], v[46:47]
	v_add_f64_e32 v[25:26], v[25:26], v[33:34]
	s_delay_alu instid0(VALU_DEP_2) | instskip(SKIP_2) | instid1(VALU_DEP_4)
	v_fma_f64 v[35:36], v[29:30], -0.5, v[27:28]
	v_add_f64_e32 v[27:28], v[27:28], v[39:40]
	v_add_f64_e64 v[39:40], v[33:34], -v[41:42]
	v_add_f64_e32 v[25:26], v[25:26], v[41:42]
	v_add_f64_e32 v[41:42], v[49:50], v[53:54]
	v_fma_f64 v[29:30], v[37:38], s[2:3], v[31:32]
	v_fma_f64 v[33:34], v[37:38], s[12:13], v[31:32]
	v_add_f64_e32 v[27:28], v[27:28], v[46:47]
	v_add_f64_e32 v[46:47], v[51:52], v[57:58]
	v_fma_f64 v[31:32], v[39:40], s[12:13], v[35:36]
	v_fma_f64 v[35:36], v[39:40], s[2:3], v[35:36]
	ds_load_b128 v[37:40], v72 offset:2688
	s_wait_dscnt 0x0
	v_fma_f64 v[41:42], v[41:42], -0.5, v[37:38]
	v_add_f64_e32 v[37:38], v[37:38], v[49:50]
	v_fma_f64 v[46:47], v[46:47], -0.5, v[39:40]
	v_add_f64_e32 v[39:40], v[39:40], v[51:52]
	v_add_f64_e64 v[51:52], v[51:52], -v[57:58]
	s_delay_alu instid0(VALU_DEP_4) | instskip(SKIP_1) | instid1(VALU_DEP_4)
	v_add_f64_e32 v[37:38], v[37:38], v[53:54]
	v_add_f64_e64 v[53:54], v[49:50], -v[53:54]
	v_add_f64_e32 v[39:40], v[39:40], v[57:58]
	s_delay_alu instid0(VALU_DEP_4)
	v_fma_f64 v[49:50], v[51:52], s[2:3], v[41:42]
	v_fma_f64 v[65:66], v[51:52], s[12:13], v[41:42]
	v_add_f64_e32 v[41:42], v[61:62], v[73:74]
	v_add_f64_e32 v[57:58], v[76:77], v[61:62]
	v_fma_f64 v[51:52], v[53:54], s[12:13], v[46:47]
	v_fma_f64 v[67:68], v[53:54], s[2:3], v[46:47]
	v_add_f64_e32 v[46:47], v[69:70], v[96:97]
	v_add_f64_e32 v[53:54], v[78:79], v[69:70]
	v_add_f64_e64 v[69:70], v[69:70], -v[96:97]
	v_fma_f64 v[41:42], v[41:42], -0.5, v[76:77]
	s_delay_alu instid0(VALU_DEP_4) | instskip(NEXT) | instid1(VALU_DEP_4)
	v_fma_f64 v[46:47], v[46:47], -0.5, v[78:79]
	v_add_f64_e32 v[98:99], v[53:54], v[96:97]
	v_add_f64_e64 v[53:54], v[61:62], -v[73:74]
	ds_load_b128 v[76:79], v72 offset:4480
	v_add_f64_e64 v[61:62], v[108:109], -v[110:111]
	v_add_f64_e32 v[96:97], v[57:58], v[73:74]
	v_fma_f64 v[100:101], v[69:70], s[2:3], v[41:42]
	v_fma_f64 v[104:105], v[69:70], s[12:13], v[41:42]
	v_add_f64_e32 v[41:42], v[112:113], v[114:115]
	s_wait_dscnt 0x0
	v_add_f64_e32 v[57:58], v[76:77], v[112:113]
	v_fma_f64 v[102:103], v[53:54], s[12:13], v[46:47]
	v_fma_f64 v[106:107], v[53:54], s[2:3], v[46:47]
	v_add_f64_e32 v[46:47], v[108:109], v[110:111]
	v_add_f64_e32 v[53:54], v[78:79], v[108:109]
	v_fma_f64 v[41:42], v[41:42], -0.5, v[76:77]
	v_add_f64_e32 v[108:109], v[57:58], v[114:115]
	s_delay_alu instid0(VALU_DEP_4) | instskip(NEXT) | instid1(VALU_DEP_4)
	v_fma_f64 v[46:47], v[46:47], -0.5, v[78:79]
	v_add_f64_e32 v[110:111], v[53:54], v[110:111]
	v_add_f64_e64 v[53:54], v[112:113], -v[114:115]
	ds_load_b128 v[76:79], v72 offset:5376
	global_wb scope:SCOPE_SE
	s_wait_dscnt 0x0
	s_barrier_signal -1
	s_barrier_wait -1
	global_inv scope:SCOPE_SE
	v_fma_f64 v[112:113], v[61:62], s[2:3], v[41:42]
	v_fma_f64 v[116:117], v[61:62], s[12:13], v[41:42]
	v_add_f64_e32 v[41:42], v[124:125], v[126:127]
	v_add_f64_e64 v[61:62], v[120:121], -v[122:123]
	v_add_f64_e32 v[57:58], v[76:77], v[124:125]
	v_fma_f64 v[114:115], v[53:54], s[12:13], v[46:47]
	v_fma_f64 v[118:119], v[53:54], s[2:3], v[46:47]
	v_add_f64_e32 v[53:54], v[78:79], v[120:121]
	v_add_f64_e32 v[46:47], v[120:121], v[122:123]
	v_fma_f64 v[41:42], v[41:42], -0.5, v[76:77]
	v_add_f64_e32 v[120:121], v[57:58], v[126:127]
	s_delay_alu instid0(VALU_DEP_4)
	v_add_f64_e32 v[122:123], v[53:54], v[122:123]
	v_add_f64_e64 v[53:54], v[124:125], -v[126:127]
	v_fma_f64 v[46:47], v[46:47], -0.5, v[78:79]
	v_fma_f64 v[124:125], v[61:62], s[2:3], v[41:42]
	v_fma_f64 v[128:129], v[61:62], s[12:13], v[41:42]
	v_lshrrev_b32_e32 v41, 3, v162
	s_delay_alu instid0(VALU_DEP_1) | instskip(NEXT) | instid1(VALU_DEP_1)
	v_mul_u32_u24_e32 v41, 24, v41
	v_or_b32_e32 v41, v41, v0
	s_delay_alu instid0(VALU_DEP_1)
	v_lshlrev_b32_e32 v41, 4, v41
	ds_store_b128 v41, v[1:4]
	ds_store_b128 v41, v[5:8] offset:128
	v_lshrrev_b32_e32 v1, 3, v64
	scratch_store_b32 off, v41, off offset:712 ; 4-byte Folded Spill
	ds_store_b128 v41, v[9:12] offset:256
	v_lshrrev_b32_e32 v2, 3, v44
	v_lshrrev_b32_e32 v3, 3, v45
	v_mul_u32_u24_e32 v1, 24, v1
	v_fma_f64 v[130:131], v[53:54], s[2:3], v[46:47]
	v_fma_f64 v[126:127], v[53:54], s[12:13], v[46:47]
	v_mul_u32_u24_e32 v2, 24, v2
	v_mul_u32_u24_e32 v3, 24, v3
	v_or_b32_e32 v1, v1, v0
	s_mov_b32 s2, 0x36b3c0b5
	s_mov_b32 s3, 0x3fac98ee
	v_or_b32_e32 v2, v2, v0
	s_mov_b32 s12, 0x37c3f68c
	v_lshlrev_b32_e32 v1, 4, v1
	ds_store_b128 v1, v[13:16]
	ds_store_b128 v1, v[17:20] offset:128
	scratch_store_b32 off, v1, off offset:708 ; 4-byte Folded Spill
	ds_store_b128 v1, v[21:24] offset:256
	v_lshrrev_b32_e32 v1, 3, v60
	s_mov_b32 s13, 0x3fdc38aa
	s_delay_alu instid0(VALU_DEP_1) | instskip(NEXT) | instid1(VALU_DEP_1)
	v_mul_u32_u24_e32 v1, 24, v1
	v_or_b32_e32 v1, v1, v0
	s_delay_alu instid0(VALU_DEP_1)
	v_lshlrev_b32_e32 v1, 4, v1
	ds_store_b128 v1, v[25:28]
	ds_store_b128 v1, v[29:32] offset:128
	scratch_store_b32 off, v1, off offset:704 ; 4-byte Folded Spill
	ds_store_b128 v1, v[33:36] offset:256
	v_lshrrev_b32_e32 v1, 3, v56
	s_delay_alu instid0(VALU_DEP_1) | instskip(NEXT) | instid1(VALU_DEP_1)
	v_mul_u32_u24_e32 v1, 24, v1
	v_or_b32_e32 v1, v1, v0
	s_delay_alu instid0(VALU_DEP_1)
	v_lshlrev_b32_e32 v1, 4, v1
	ds_store_b128 v1, v[37:40]
	ds_store_b128 v1, v[49:52] offset:128
	scratch_store_b32 off, v1, off offset:700 ; 4-byte Folded Spill
	ds_store_b128 v1, v[65:68] offset:256
	v_and_b32_e32 v1, 0xff, v162
	s_delay_alu instid0(VALU_DEP_1) | instskip(NEXT) | instid1(VALU_DEP_1)
	v_mul_lo_u16 v1, 0xab, v1
	v_lshrrev_b16 v229, 12, v1
	v_lshrrev_b32_e32 v1, 3, v48
	s_delay_alu instid0(VALU_DEP_2) | instskip(NEXT) | instid1(VALU_DEP_2)
	v_mul_lo_u16 v4, v229, 24
	v_mul_u32_u24_e32 v1, 24, v1
	s_delay_alu instid0(VALU_DEP_2) | instskip(NEXT) | instid1(VALU_DEP_2)
	v_sub_nc_u16 v4, v162, v4
	v_or_b32_e32 v1, v1, v0
	v_or_b32_e32 v0, v3, v0
	s_delay_alu instid0(VALU_DEP_3) | instskip(NEXT) | instid1(VALU_DEP_3)
	v_and_b32_e32 v76, 0xff, v4
	v_lshlrev_b32_e32 v3, 4, v1
	v_lshlrev_b32_e32 v1, 4, v2
	s_delay_alu instid0(VALU_DEP_4)
	v_lshlrev_b32_e32 v0, 4, v0
	ds_store_b128 v3, v[96:99]
	ds_store_b128 v3, v[100:103] offset:128
	v_mad_co_u64_u32 v[12:13], null, 0x60, v76, s[0:1]
	scratch_store_b32 off, v3, off offset:696 ; 4-byte Folded Spill
	ds_store_b128 v3, v[104:107] offset:256
	ds_store_b128 v1, v[108:111]
	ds_store_b128 v1, v[112:115] offset:128
	scratch_store_b32 off, v1, off offset:692 ; 4-byte Folded Spill
	ds_store_b128 v1, v[116:119] offset:256
	ds_store_b128 v0, v[120:123]
	ds_store_b128 v0, v[124:127] offset:128
	scratch_store_b32 off, v0, off offset:688 ; 4-byte Folded Spill
	ds_store_b128 v0, v[128:131] offset:256
	global_wb scope:SCOPE_SE
	s_wait_storecnt_dscnt 0x0
	s_barrier_signal -1
	s_barrier_wait -1
	global_inv scope:SCOPE_SE
	s_clause 0x3
	global_load_b128 v[30:33], v[12:13], off offset:352
	global_load_b128 v[36:39], v[12:13], off offset:368
	;; [unrolled: 1-line block ×4, first 2 shown]
	ds_load_b128 v[0:3], v72 offset:2688
	ds_load_b128 v[4:7], v72 offset:5376
	;; [unrolled: 1-line block ×3, first 2 shown]
	s_clause 0x1
	global_load_b128 v[152:155], v[12:13], off offset:384
	global_load_b128 v[148:151], v[12:13], off offset:400
	v_mov_b32_e32 v116, v162
	ds_load_b128 v[144:147], v72 offset:12544
	ds_load_b128 v[172:175], v72 offset:1792
	s_wait_loadcnt_dscnt 0x504
	v_mul_f64_e32 v[14:15], v[2:3], v[32:33]
	v_mul_f64_e32 v[16:17], v[0:1], v[32:33]
	s_wait_loadcnt_dscnt 0x403
	v_mul_f64_e32 v[18:19], v[6:7], v[38:39]
	s_clause 0x1
	scratch_store_b128 off, v[30:33], off offset:528
	scratch_store_b128 off, v[36:39], off offset:512
	v_mul_f64_e32 v[20:21], v[4:5], v[38:39]
	s_wait_loadcnt 0x3
	scratch_store_b128 off, v[22:25], off offset:480 ; 16-byte Folded Spill
	s_wait_loadcnt 0x2
	scratch_store_b128 off, v[26:29], off offset:496 ; 16-byte Folded Spill
	v_fma_f64 v[34:35], v[0:1], v[30:31], -v[14:15]
	v_fma_f64 v[32:33], v[2:3], v[30:31], v[16:17]
	ds_load_b128 v[0:3], v72 offset:13440
	v_fma_f64 v[40:41], v[4:5], v[36:37], -v[18:19]
	s_wait_dscnt 0x3
	v_mul_f64_e32 v[14:15], v[10:11], v[24:25]
	v_fma_f64 v[36:37], v[6:7], v[36:37], v[20:21]
	v_mul_f64_e32 v[16:17], v[8:9], v[24:25]
	s_wait_dscnt 0x0
	v_mul_f64_e32 v[4:5], v[2:3], v[28:29]
	v_mul_f64_e32 v[6:7], v[0:1], v[28:29]
	v_fma_f64 v[42:43], v[8:9], v[22:23], -v[14:15]
	s_delay_alu instid0(VALU_DEP_4) | instskip(NEXT) | instid1(VALU_DEP_4)
	v_fma_f64 v[38:39], v[10:11], v[22:23], v[16:17]
	v_fma_f64 v[46:47], v[0:1], v[26:27], -v[4:5]
	v_and_b32_e32 v0, 0xff, v64
	v_fma_f64 v[44:45], v[2:3], v[26:27], v[6:7]
	s_delay_alu instid0(VALU_DEP_2) | instskip(NEXT) | instid1(VALU_DEP_1)
	v_mul_lo_u16 v0, 0xab, v0
	v_lshrrev_b16 v77, 12, v0
	s_delay_alu instid0(VALU_DEP_1) | instskip(SKIP_1) | instid1(VALU_DEP_2)
	v_mul_lo_u16 v0, v77, 24
	v_add_f64_e32 v[180:181], v[34:35], v[42:43]
	v_sub_nc_u16 v0, v64, v0
	v_add_f64_e32 v[214:215], v[32:33], v[38:39]
	v_add_f64_e64 v[42:43], v[34:35], -v[42:43]
	s_delay_alu instid0(VALU_DEP_3)
	v_and_b32_e32 v78, 0xff, v0
	ds_load_b128 v[0:3], v72 offset:3584
	v_mad_co_u64_u32 v[52:53], null, 0x60, v78, s[0:1]
	v_add_f64_e32 v[182:183], v[40:41], v[46:47]
	s_clause 0x2
	global_load_b128 v[6:9], v[52:53], off offset:352
	global_load_b128 v[156:159], v[52:53], off offset:384
	;; [unrolled: 1-line block ×3, first 2 shown]
	v_add_f64_e32 v[222:223], v[36:37], v[44:45]
	v_add_f64_e64 v[40:41], v[40:41], -v[46:47]
	v_add_f64_e64 v[36:37], v[36:37], -v[44:45]
	s_wait_loadcnt_dscnt 0x200
	v_mul_f64_e32 v[4:5], v[2:3], v[8:9]
	scratch_store_b128 off, v[6:9], off offset:576 ; 16-byte Folded Spill
	v_fma_f64 v[16:17], v[0:1], v[6:7], -v[4:5]
	v_mul_f64_e32 v[0:1], v[0:1], v[8:9]
	s_delay_alu instid0(VALU_DEP_1)
	v_fma_f64 v[18:19], v[2:3], v[6:7], v[0:1]
	global_load_b128 v[6:9], v[52:53], off offset:368
	ds_load_b128 v[0:3], v72 offset:6272
	s_wait_loadcnt_dscnt 0x0
	v_mul_f64_e32 v[4:5], v[2:3], v[8:9]
	scratch_store_b128 off, v[6:9], off offset:624 ; 16-byte Folded Spill
	v_fma_f64 v[20:21], v[0:1], v[6:7], -v[4:5]
	v_mul_f64_e32 v[0:1], v[0:1], v[8:9]
	s_delay_alu instid0(VALU_DEP_1)
	v_fma_f64 v[22:23], v[2:3], v[6:7], v[0:1]
	global_load_b128 v[6:9], v[52:53], off offset:432
	ds_load_b128 v[0:3], v72 offset:17024
	s_wait_loadcnt_dscnt 0x0
	v_mul_f64_e32 v[4:5], v[2:3], v[8:9]
	scratch_store_b128 off, v[6:9], off offset:560 ; 16-byte Folded Spill
	v_fma_f64 v[24:25], v[0:1], v[6:7], -v[4:5]
	v_mul_f64_e32 v[0:1], v[0:1], v[8:9]
	s_delay_alu instid0(VALU_DEP_2) | instskip(NEXT) | instid1(VALU_DEP_2)
	v_add_f64_e32 v[202:203], v[16:17], v[24:25]
	v_fma_f64 v[26:27], v[2:3], v[6:7], v[0:1]
	global_load_b128 v[6:9], v[52:53], off offset:416
	ds_load_b128 v[0:3], v72 offset:14336
	v_add_f64_e64 v[24:25], v[16:17], -v[24:25]
	v_add_f64_e32 v[206:207], v[18:19], v[26:27]
	v_add_f64_e64 v[26:27], v[18:19], -v[26:27]
	s_wait_loadcnt_dscnt 0x0
	v_mul_f64_e32 v[4:5], v[2:3], v[8:9]
	s_delay_alu instid0(VALU_DEP_1) | instskip(SKIP_1) | instid1(VALU_DEP_2)
	v_fma_f64 v[28:29], v[0:1], v[6:7], -v[4:5]
	v_mul_f64_e32 v[0:1], v[0:1], v[8:9]
	v_add_f64_e32 v[218:219], v[20:21], v[28:29]
	s_delay_alu instid0(VALU_DEP_2)
	v_fma_f64 v[30:31], v[2:3], v[6:7], v[0:1]
	ds_load_b128 v[0:3], v72 offset:8064
	v_add_f64_e64 v[20:21], v[20:21], -v[28:29]
	s_wait_dscnt 0x0
	v_mul_f64_e32 v[4:5], v[2:3], v[154:155]
	v_add_f64_e32 v[220:221], v[22:23], v[30:31]
	v_add_f64_e64 v[22:23], v[22:23], -v[30:31]
	s_delay_alu instid0(VALU_DEP_3) | instskip(SKIP_1) | instid1(VALU_DEP_1)
	v_fma_f64 v[66:67], v[0:1], v[152:153], -v[4:5]
	v_mul_f64_e32 v[0:1], v[0:1], v[154:155]
	v_fma_f64 v[64:65], v[2:3], v[152:153], v[0:1]
	ds_load_b128 v[0:3], v72 offset:10752
	s_wait_dscnt 0x0
	v_mul_f64_e32 v[4:5], v[2:3], v[150:151]
	s_delay_alu instid0(VALU_DEP_1) | instskip(SKIP_1) | instid1(VALU_DEP_2)
	v_fma_f64 v[70:71], v[0:1], v[148:149], -v[4:5]
	v_mul_f64_e32 v[0:1], v[0:1], v[150:151]
	v_add_f64_e32 v[184:185], v[66:67], v[70:71]
	s_delay_alu instid0(VALU_DEP_2) | instskip(SKIP_4) | instid1(VALU_DEP_4)
	v_fma_f64 v[68:69], v[2:3], v[148:149], v[0:1]
	v_and_b32_e32 v0, 0xff, v60
	v_add_f64_e64 v[46:47], v[70:71], -v[66:67]
	v_add_f64_e64 v[66:67], v[182:183], -v[180:181]
	;; [unrolled: 1-line block ×3, first 2 shown]
	v_mul_lo_u16 v0, 0xab, v0
	s_delay_alu instid0(VALU_DEP_1) | instskip(NEXT) | instid1(VALU_DEP_1)
	v_lshrrev_b16 v73, 12, v0
	v_mul_lo_u16 v0, v73, 24
	s_delay_alu instid0(VALU_DEP_1) | instskip(NEXT) | instid1(VALU_DEP_1)
	v_sub_nc_u16 v0, v60, v0
	v_and_b32_e32 v228, 0xff, v0
	s_delay_alu instid0(VALU_DEP_1)
	v_mad_co_u64_u32 v[74:75], null, 0x60, v228, s[0:1]
	v_add_f64_e32 v[216:217], v[64:65], v[68:69]
	s_clause 0x1
	global_load_b128 v[48:51], v[74:75], off offset:432
	global_load_b128 v[54:57], v[74:75], off offset:416
	scratch_store_b128 off, v[6:9], off offset:592 ; 16-byte Folded Spill
	s_clause 0x1
	global_load_b128 v[8:11], v[74:75], off offset:352
	global_load_b128 v[12:15], v[74:75], off offset:368
	ds_load_b128 v[4:7], v72 offset:4480
	s_clause 0x1
	global_load_b128 v[160:163], v[74:75], off offset:384
	global_load_b128 v[168:171], v[74:75], off offset:400
	v_add_f64_e32 v[74:75], v[182:183], v[180:181]
	v_add_f64_e64 v[44:45], v[68:69], -v[64:65]
	v_add_f64_e64 v[34:35], v[46:47], -v[40:41]
	;; [unrolled: 1-line block ×4, first 2 shown]
	v_add_f64_e32 v[32:33], v[46:47], v[40:41]
	v_add_f64_e64 v[40:41], v[40:41], -v[42:43]
	v_add_f64_e64 v[114:115], v[42:43], -v[46:47]
	;; [unrolled: 1-line block ×3, first 2 shown]
	v_add_f64_e32 v[224:225], v[184:185], v[74:75]
	v_add_f64_e32 v[74:75], v[222:223], v[214:215]
	v_add_f64_e64 v[38:39], v[44:45], -v[36:37]
	v_mul_f64_e32 v[104:105], s[28:29], v[34:35]
	v_add_f64_e32 v[100:101], v[44:45], v[36:37]
	v_add_f64_e64 v[102:103], v[36:37], -v[64:65]
	v_add_f64_e32 v[108:109], v[32:33], v[42:43]
	s_wait_alu 0xfffe
	v_mul_f64_e32 v[32:33], s[2:3], v[68:69]
	v_mul_f64_e32 v[34:35], s[2:3], v[98:99]
	v_add_f64_e32 v[226:227], v[216:217], v[74:75]
	v_add_f64_e32 v[74:75], v[218:219], v[202:203]
	v_mul_f64_e32 v[106:107], s[28:29], v[38:39]
	v_fma_f64 v[36:37], v[40:41], s[14:15], -v[104:105]
	v_add_f64_e32 v[100:101], v[100:101], v[64:65]
	v_add_f64_e64 v[64:65], v[64:65], -v[44:45]
	v_fma_f64 v[32:33], v[66:67], s[26:27], -v[32:33]
	v_mul_f64_e32 v[40:41], s[14:15], v[40:41]
	v_mul_f64_e32 v[42:43], s[14:15], v[102:103]
	v_fma_f64 v[34:35], v[70:71], s[26:27], -v[34:35]
	v_fma_f64 v[38:39], v[108:109], s[12:13], v[36:37]
	v_fma_f64 v[36:37], v[102:103], s[14:15], -v[106:107]
	v_fma_f64 v[40:41], v[114:115], s[24:25], -v[40:41]
	;; [unrolled: 1-line block ×3, first 2 shown]
	v_fma_f64 v[64:65], v[64:65], s[16:17], v[106:107]
	s_delay_alu instid0(VALU_DEP_4)
	v_fma_f64 v[36:37], v[100:101], s[12:13], v[36:37]
	s_wait_loadcnt 0x5
	scratch_store_b128 off, v[48:51], off offset:544 ; 16-byte Folded Spill
	s_wait_loadcnt 0x4
	scratch_store_b128 off, v[54:57], off offset:608 ; 16-byte Folded Spill
	s_wait_loadcnt_dscnt 0x300
	v_mul_f64_e32 v[0:1], v[6:7], v[10:11]
	scratch_store_b128 off, v[8:11], off offset:640 ; 16-byte Folded Spill
	s_wait_loadcnt 0x2
	scratch_store_b128 off, v[12:15], off offset:656 ; 16-byte Folded Spill
	v_fma_f64 v[2:3], v[4:5], v[8:9], -v[0:1]
	v_mul_f64_e32 v[0:1], v[4:5], v[10:11]
	s_delay_alu instid0(VALU_DEP_1) | instskip(SKIP_3) | instid1(VALU_DEP_1)
	v_fma_f64 v[0:1], v[6:7], v[8:9], v[0:1]
	ds_load_b128 v[8:11], v72 offset:7168
	s_wait_dscnt 0x0
	v_mul_f64_e32 v[4:5], v[10:11], v[14:15]
	v_fma_f64 v[6:7], v[8:9], v[12:13], -v[4:5]
	v_mul_f64_e32 v[4:5], v[8:9], v[14:15]
	s_delay_alu instid0(VALU_DEP_1) | instskip(SKIP_3) | instid1(VALU_DEP_1)
	v_fma_f64 v[4:5], v[10:11], v[12:13], v[4:5]
	ds_load_b128 v[12:15], v72 offset:17920
	s_wait_dscnt 0x0
	v_mul_f64_e32 v[8:9], v[14:15], v[50:51]
	v_fma_f64 v[10:11], v[12:13], v[48:49], -v[8:9]
	v_mul_f64_e32 v[8:9], v[12:13], v[50:51]
	s_delay_alu instid0(VALU_DEP_2) | instskip(NEXT) | instid1(VALU_DEP_2)
	v_add_f64_e32 v[186:187], v[2:3], v[10:11]
	v_fma_f64 v[8:9], v[14:15], v[48:49], v[8:9]
	ds_load_b128 v[48:51], v72 offset:15232
	v_add_f64_e64 v[10:11], v[2:3], -v[10:11]
	s_wait_dscnt 0x0
	v_mul_f64_e32 v[12:13], v[50:51], v[56:57]
	v_add_f64_e32 v[190:191], v[0:1], v[8:9]
	v_add_f64_e64 v[8:9], v[0:1], -v[8:9]
	s_delay_alu instid0(VALU_DEP_3) | instskip(SKIP_1) | instid1(VALU_DEP_2)
	v_fma_f64 v[14:15], v[48:49], v[54:55], -v[12:13]
	v_mul_f64_e32 v[12:13], v[48:49], v[56:57]
	v_add_f64_e32 v[198:199], v[6:7], v[14:15]
	s_delay_alu instid0(VALU_DEP_2)
	v_fma_f64 v[12:13], v[50:51], v[54:55], v[12:13]
	ds_load_b128 v[48:51], v72 offset:8960
	v_add_f64_e64 v[6:7], v[6:7], -v[14:15]
	s_wait_dscnt 0x0
	v_mul_f64_e32 v[54:55], v[50:51], v[158:159]
	v_add_f64_e32 v[200:201], v[4:5], v[12:13]
	v_add_f64_e64 v[2:3], v[4:5], -v[12:13]
	s_delay_alu instid0(VALU_DEP_3) | instskip(SKIP_1) | instid1(VALU_DEP_1)
	v_fma_f64 v[58:59], v[48:49], v[156:157], -v[54:55]
	v_mul_f64_e32 v[48:49], v[48:49], v[158:159]
	v_fma_f64 v[56:57], v[50:51], v[156:157], v[48:49]
	ds_load_b128 v[48:51], v72 offset:11648
	s_wait_dscnt 0x0
	v_mul_f64_e32 v[52:53], v[50:51], v[166:167]
	s_delay_alu instid0(VALU_DEP_1)
	v_fma_f64 v[62:63], v[48:49], v[164:165], -v[52:53]
	v_mul_f64_e32 v[48:49], v[48:49], v[166:167]
	ds_load_b128 v[52:55], v72 offset:9856
	v_add_f64_e32 v[204:205], v[58:59], v[62:63]
	v_fma_f64 v[60:61], v[50:51], v[164:165], v[48:49]
	s_wait_loadcnt_dscnt 0x100
	v_mul_f64_e32 v[48:49], v[54:55], v[162:163]
	v_add_f64_e64 v[28:29], v[62:63], -v[58:59]
	s_delay_alu instid0(VALU_DEP_4) | instskip(NEXT) | instid1(VALU_DEP_4)
	v_add_f64_e32 v[210:211], v[204:205], v[74:75]
	v_add_f64_e32 v[208:209], v[56:57], v[60:61]
	s_delay_alu instid0(VALU_DEP_4)
	v_fma_f64 v[50:51], v[52:53], v[160:161], -v[48:49]
	v_mul_f64_e32 v[48:49], v[52:53], v[162:163]
	s_wait_loadcnt 0x0
	v_mul_f64_e32 v[52:53], v[146:147], v[170:171]
	v_add_f64_e32 v[74:75], v[220:221], v[206:207]
	v_add_f64_e64 v[30:31], v[60:61], -v[56:57]
	v_add_f64_e64 v[18:19], v[28:29], -v[20:21]
	;; [unrolled: 1-line block ×3, first 2 shown]
	v_add_f64_e32 v[16:17], v[28:29], v[20:21]
	v_add_f64_e64 v[56:57], v[218:219], -v[202:203]
	v_add_f64_e64 v[60:61], v[220:221], -v[206:207]
	;; [unrolled: 1-line block ×3, first 2 shown]
	v_fma_f64 v[48:49], v[54:55], v[160:161], v[48:49]
	v_fma_f64 v[54:55], v[144:145], v[168:169], -v[52:53]
	v_mul_f64_e32 v[52:53], v[144:145], v[170:171]
	v_add_f64_e32 v[212:213], v[208:209], v[74:75]
	v_add_f64_e32 v[74:75], v[198:199], v[186:187]
	s_delay_alu instid0(VALU_DEP_4) | instskip(NEXT) | instid1(VALU_DEP_4)
	v_add_f64_e32 v[188:189], v[50:51], v[54:55]
	v_fma_f64 v[52:53], v[146:147], v[168:169], v[52:53]
	ds_load_b128 v[144:147], v72
	v_add_f64_e64 v[14:15], v[54:55], -v[50:51]
	s_wait_dscnt 0x0
	v_add_f64_e32 v[176:177], v[144:145], v[224:225]
	v_add_f64_e32 v[178:179], v[146:147], v[226:227]
	ds_load_b128 v[144:147], v72 offset:896
	global_wb scope:SCOPE_SE
	s_wait_storecnt_dscnt 0x0
	s_barrier_signal -1
	s_barrier_wait -1
	global_inv scope:SCOPE_SE
	v_add_f64_e32 v[194:195], v[188:189], v[74:75]
	v_add_f64_e32 v[192:193], v[48:49], v[52:53]
	;; [unrolled: 1-line block ×3, first 2 shown]
	v_add_f64_e64 v[12:13], v[52:53], -v[48:49]
	v_add_f64_e64 v[4:5], v[14:15], -v[6:7]
	;; [unrolled: 1-line block ×3, first 2 shown]
	v_add_f64_e32 v[144:145], v[144:145], v[210:211]
	v_add_f64_e32 v[146:147], v[146:147], v[212:213]
	;; [unrolled: 1-line block ×3, first 2 shown]
	v_add_f64_e64 v[48:49], v[198:199], -v[186:187]
	v_add_f64_e64 v[52:53], v[200:201], -v[190:191]
	v_fma_f64 v[96:97], v[226:227], s[20:21], v[178:179]
	v_add_f64_e32 v[172:173], v[172:173], v[194:195]
	v_add_f64_e64 v[54:55], v[192:193], -v[200:201]
	v_add_f64_e32 v[196:197], v[192:193], v[74:75]
	v_and_b32_e32 v74, 0xffff, v229
	v_fma_f64 v[106:107], v[210:211], s[20:21], v[144:145]
	s_delay_alu instid0(VALU_DEP_2) | instskip(NEXT) | instid1(VALU_DEP_1)
	v_mul_u32_u24_e32 v74, 0xa8, v74
	v_add_lshl_u32 v76, v74, v76, 4
	v_fma_f64 v[74:75], v[224:225], s[20:21], v[176:177]
	ds_store_b128 v76, v[176:179]
	v_add_f64_e64 v[176:177], v[26:27], -v[30:31]
	v_add_f64_e32 v[112:113], v[34:35], v[96:97]
	v_add_f64_e32 v[174:175], v[174:175], v[196:197]
	;; [unrolled: 1-line block ×3, first 2 shown]
	s_delay_alu instid0(VALU_DEP_3) | instskip(SKIP_2) | instid1(VALU_DEP_4)
	v_add_f64_e32 v[34:35], v[38:39], v[112:113]
	v_add_f64_e64 v[38:39], v[112:113], -v[38:39]
	v_add_f64_e64 v[112:113], v[214:215], -v[216:217]
	;; [unrolled: 1-line block ×3, first 2 shown]
	v_add_f64_e32 v[36:37], v[36:37], v[110:111]
	v_add_f64_e64 v[110:111], v[180:181], -v[184:185]
	s_delay_alu instid0(VALU_DEP_1) | instskip(SKIP_1) | instid1(VALU_DEP_2)
	v_mul_f64_e32 v[102:103], s[18:19], v[110:111]
	v_mul_f64_e32 v[110:111], s[18:19], v[112:113]
	v_fma_f64 v[44:45], v[66:67], s[22:23], -v[102:103]
	s_delay_alu instid0(VALU_DEP_2)
	v_fma_f64 v[46:47], v[70:71], s[22:23], -v[110:111]
	v_fma_f64 v[66:67], v[108:109], s[12:13], v[40:41]
	v_fma_f64 v[70:71], v[100:101], s[12:13], v[42:43]
	;; [unrolled: 1-line block ×4, first 2 shown]
	v_mul_f64_e32 v[102:103], s[28:29], v[18:19]
	v_mul_f64_e32 v[18:19], s[2:3], v[62:63]
	v_add_f64_e32 v[44:45], v[44:45], v[74:75]
	v_add_f64_e32 v[46:47], v[46:47], v[96:97]
	;; [unrolled: 1-line block ×3, first 2 shown]
	v_add_f64_e64 v[74:75], v[20:21], -v[24:25]
	v_add_f64_e64 v[20:21], v[30:31], -v[22:23]
	v_fma_f64 v[18:19], v[60:61], s[26:27], -v[18:19]
	v_add_f64_e32 v[40:41], v[70:71], v[44:45]
	v_add_f64_e64 v[42:43], v[46:47], -v[66:67]
	v_add_f64_e64 v[44:45], v[44:45], -v[70:71]
	v_add_f64_e32 v[46:47], v[66:67], v[46:47]
	v_fma_f64 v[66:67], v[114:115], s[16:17], v[104:105]
	v_fma_f64 v[70:71], v[98:99], s[2:3], v[110:111]
	v_add_f64_e32 v[64:65], v[100:101], v[68:69]
	v_add_f64_e64 v[68:69], v[68:69], -v[100:101]
	v_add_f64_e32 v[100:101], v[16:17], v[24:25]
	v_mul_f64_e32 v[104:105], s[28:29], v[20:21]
	v_mul_f64_e32 v[16:17], s[2:3], v[58:59]
	v_fma_f64 v[20:21], v[74:75], s[14:15], -v[102:103]
	v_add_f64_e64 v[114:115], v[24:25], -v[28:29]
	v_mul_f64_e32 v[24:25], s[14:15], v[74:75]
	v_fma_f64 v[98:99], v[108:109], s[12:13], v[66:67]
	v_add_f64_e32 v[70:71], v[70:71], v[96:97]
	v_add_f64_e32 v[96:97], v[30:31], v[22:23]
	v_fma_f64 v[108:109], v[212:213], s[20:21], v[146:147]
	v_fma_f64 v[16:17], v[56:57], s[26:27], -v[16:17]
	v_fma_f64 v[24:25], v[114:115], s[24:25], -v[24:25]
	v_add_f64_e64 v[66:67], v[70:71], -v[98:99]
	v_add_f64_e32 v[70:71], v[98:99], v[70:71]
	v_add_f64_e64 v[98:99], v[22:23], -v[26:27]
	v_add_f64_e32 v[96:97], v[96:97], v[26:27]
	v_fma_f64 v[22:23], v[100:101], s[12:13], v[20:21]
	v_add_f64_e32 v[110:111], v[16:17], v[106:107]
	v_add_f64_e32 v[112:113], v[18:19], v[108:109]
	ds_store_b128 v76, v[64:67] offset:384
	ds_store_b128 v76, v[40:43] offset:768
	;; [unrolled: 1-line block ×5, first 2 shown]
	v_and_b32_e32 v32, 0xffff, v77
	v_fma_f64 v[20:21], v[98:99], s[14:15], -v[104:105]
	v_mul_f64_e32 v[26:27], s[14:15], v[98:99]
	scratch_store_b32 off, v76, off offset:716 ; 4-byte Folded Spill
	ds_store_b128 v76, v[68:71] offset:2304
	v_add_f64_e32 v[18:19], v[22:23], v[112:113]
	v_add_f64_e64 v[22:23], v[112:113], -v[22:23]
	v_add_f64_e64 v[112:113], v[206:207], -v[208:209]
	v_mul_u32_u24_e32 v32, 0xa8, v32
	s_delay_alu instid0(VALU_DEP_1)
	v_add_lshl_u32 v32, v32, v78, 4
	ds_store_b128 v32, v[144:147]
	v_dual_mov_b32 v146, v32 :: v_dual_mov_b32 v147, v116
	v_fma_f64 v[20:21], v[96:97], s[12:13], v[20:21]
	v_fma_f64 v[26:27], v[176:177], s[24:25], -v[26:27]
	v_mul_f64_e32 v[98:99], s[18:19], v[112:113]
	s_delay_alu instid0(VALU_DEP_3) | instskip(SKIP_2) | instid1(VALU_DEP_4)
	v_add_f64_e64 v[16:17], v[110:111], -v[20:21]
	v_add_f64_e32 v[20:21], v[20:21], v[110:111]
	v_add_f64_e64 v[110:111], v[202:203], -v[204:205]
	v_fma_f64 v[30:31], v[60:61], s[22:23], -v[98:99]
	v_fma_f64 v[60:61], v[96:97], s[12:13], v[26:27]
	v_fma_f64 v[62:63], v[62:63], s[2:3], v[98:99]
	v_add_f64_e64 v[98:99], v[2:3], -v[8:9]
	v_mul_f64_e32 v[74:75], s[18:19], v[110:111]
	v_add_f64_e32 v[30:31], v[30:31], v[108:109]
	s_delay_alu instid0(VALU_DEP_4) | instskip(SKIP_1) | instid1(VALU_DEP_4)
	v_add_f64_e32 v[62:63], v[62:63], v[108:109]
	v_fma_f64 v[108:109], v[196:197], s[20:21], v[174:175]
	v_fma_f64 v[28:29], v[56:57], s[22:23], -v[74:75]
	v_fma_f64 v[56:57], v[100:101], s[12:13], v[24:25]
	v_fma_f64 v[58:59], v[58:59], s[2:3], v[74:75]
	s_delay_alu instid0(VALU_DEP_3) | instskip(NEXT) | instid1(VALU_DEP_3)
	v_add_f64_e32 v[28:29], v[28:29], v[106:107]
	v_add_f64_e64 v[26:27], v[30:31], -v[56:57]
	v_add_f64_e32 v[30:31], v[56:57], v[30:31]
	v_fma_f64 v[56:57], v[114:115], s[16:17], v[102:103]
	v_add_f64_e64 v[114:115], v[10:11], -v[14:15]
	v_add_f64_e32 v[24:25], v[60:61], v[28:29]
	v_add_f64_e64 v[28:29], v[28:29], -v[60:61]
	v_fma_f64 v[60:61], v[176:177], s[16:17], v[104:105]
	v_fma_f64 v[74:75], v[100:101], s[12:13], v[56:57]
	v_mul_f64_e32 v[104:105], s[28:29], v[4:5]
	v_add_f64_e32 v[100:101], v[0:1], v[10:11]
	v_mul_f64_e32 v[0:1], s[2:3], v[50:51]
	v_add_f64_e64 v[176:177], v[8:9], -v[12:13]
	v_fma_f64 v[60:61], v[96:97], s[12:13], v[60:61]
	v_add_f64_e32 v[96:97], v[58:59], v[106:107]
	v_add_f64_e64 v[58:59], v[62:63], -v[74:75]
	v_add_f64_e32 v[62:63], v[74:75], v[62:63]
	v_add_f64_e64 v[74:75], v[6:7], -v[10:11]
	v_add_f64_e32 v[6:7], v[12:13], v[2:3]
	v_fma_f64 v[0:1], v[48:49], s[26:27], -v[0:1]
	v_fma_f64 v[106:107], v[194:195], s[20:21], v[172:173]
	v_mul_f64_e32 v[10:11], s[14:15], v[98:99]
	v_add_f64_e32 v[56:57], v[60:61], v[96:97]
	v_add_f64_e64 v[60:61], v[96:97], -v[60:61]
	v_add_f64_e64 v[96:97], v[12:13], -v[2:3]
	v_mul_f64_e32 v[2:3], s[2:3], v[54:55]
	v_fma_f64 v[4:5], v[74:75], s[14:15], -v[104:105]
	v_add_f64_e32 v[102:103], v[6:7], v[8:9]
	v_add_f64_e32 v[110:111], v[0:1], v[106:107]
	v_mul_f64_e32 v[8:9], s[14:15], v[74:75]
	v_fma_f64 v[10:11], v[176:177], s[24:25], -v[10:11]
	ds_store_b128 v32, v[56:59] offset:384
	ds_store_b128 v32, v[24:27] offset:768
	;; [unrolled: 1-line block ×6, first 2 shown]
	v_and_b32_e32 v16, 0xffff, v73
	v_mul_f64_e32 v[96:97], s[28:29], v[96:97]
	v_fma_f64 v[2:3], v[52:53], s[26:27], -v[2:3]
	v_fma_f64 v[6:7], v[100:101], s[12:13], v[4:5]
	s_delay_alu instid0(VALU_DEP_4) | instskip(SKIP_1) | instid1(VALU_DEP_2)
	v_mul_u32_u24_e32 v16, 0xa8, v16
	v_fma_f64 v[8:9], v[114:115], s[24:25], -v[8:9]
	v_add_lshl_u32 v79, v16, v228, 4
	v_fma_f64 v[4:5], v[98:99], s[14:15], -v[96:97]
	v_add_f64_e32 v[112:113], v[2:3], v[108:109]
	s_delay_alu instid0(VALU_DEP_2) | instskip(NEXT) | instid1(VALU_DEP_2)
	v_fma_f64 v[4:5], v[102:103], s[12:13], v[4:5]
	v_add_f64_e32 v[2:3], v[6:7], v[112:113]
	v_add_f64_e64 v[6:7], v[112:113], -v[6:7]
	v_add_f64_e64 v[112:113], v[190:191], -v[192:193]
	s_delay_alu instid0(VALU_DEP_4) | instskip(SKIP_2) | instid1(VALU_DEP_4)
	v_add_f64_e64 v[0:1], v[110:111], -v[4:5]
	v_add_f64_e32 v[4:5], v[4:5], v[110:111]
	v_add_f64_e64 v[110:111], v[186:187], -v[188:189]
	v_mul_f64_e32 v[98:99], s[18:19], v[112:113]
	s_delay_alu instid0(VALU_DEP_2) | instskip(NEXT) | instid1(VALU_DEP_2)
	v_mul_f64_e32 v[74:75], s[18:19], v[110:111]
	v_fma_f64 v[14:15], v[52:53], s[22:23], -v[98:99]
	v_fma_f64 v[52:53], v[102:103], s[12:13], v[10:11]
	v_fma_f64 v[54:55], v[54:55], s[2:3], v[98:99]
	s_delay_alu instid0(VALU_DEP_4)
	v_fma_f64 v[12:13], v[48:49], s[22:23], -v[74:75]
	v_fma_f64 v[48:49], v[100:101], s[12:13], v[8:9]
	v_add_f64_e32 v[14:15], v[14:15], v[108:109]
	v_fma_f64 v[50:51], v[50:51], s[2:3], v[74:75]
	v_add_f64_e32 v[54:55], v[54:55], v[108:109]
	v_add_f64_e32 v[12:13], v[12:13], v[106:107]
	s_delay_alu instid0(VALU_DEP_4) | instskip(SKIP_2) | instid1(VALU_DEP_4)
	v_add_f64_e64 v[10:11], v[14:15], -v[48:49]
	v_add_f64_e32 v[14:15], v[48:49], v[14:15]
	v_fma_f64 v[48:49], v[114:115], s[16:17], v[104:105]
	v_add_f64_e32 v[8:9], v[52:53], v[12:13]
	v_add_f64_e64 v[12:13], v[12:13], -v[52:53]
	v_fma_f64 v[52:53], v[176:177], s[16:17], v[96:97]
	v_add_f64_e32 v[96:97], v[50:51], v[106:107]
	v_fma_f64 v[74:75], v[100:101], s[12:13], v[48:49]
	s_delay_alu instid0(VALU_DEP_3) | instskip(NEXT) | instid1(VALU_DEP_2)
	v_fma_f64 v[52:53], v[102:103], s[12:13], v[52:53]
	v_add_f64_e64 v[50:51], v[54:55], -v[74:75]
	v_add_f64_e32 v[54:55], v[74:75], v[54:55]
	s_delay_alu instid0(VALU_DEP_3)
	v_add_f64_e32 v[48:49], v[52:53], v[96:97]
	v_add_f64_e64 v[52:53], v[96:97], -v[52:53]
	ds_store_b128 v79, v[172:175]
	ds_store_b128 v79, v[48:51] offset:384
	ds_store_b128 v79, v[8:11] offset:768
	;; [unrolled: 1-line block ×6, first 2 shown]
	v_mad_co_u64_u32 v[4:5], null, 0x60, v116, s[0:1]
	global_wb scope:SCOPE_SE
	s_wait_storecnt_dscnt 0x0
	s_barrier_signal -1
	s_barrier_wait -1
	global_inv scope:SCOPE_SE
	ds_load_b128 v[0:3], v72 offset:2688
	s_add_nc_u64 s[0:1], s[10:11], 0x4980
	s_clause 0x11
	global_load_b128 v[8:11], v[4:5], off offset:2656
	global_load_b128 v[224:227], v[4:5], off offset:2672
	;; [unrolled: 1-line block ×18, first 2 shown]
	s_wait_loadcnt_dscnt 0x1100
	v_mul_f64_e32 v[6:7], v[2:3], v[10:11]
	scratch_store_b128 off, v[8:11], off offset:672 ; 16-byte Folded Spill
	v_fma_f64 v[12:13], v[0:1], v[8:9], -v[6:7]
	v_mul_f64_e32 v[0:1], v[0:1], v[10:11]
	s_delay_alu instid0(VALU_DEP_1) | instskip(SKIP_3) | instid1(VALU_DEP_1)
	v_fma_f64 v[14:15], v[2:3], v[8:9], v[0:1]
	ds_load_b128 v[0:3], v72 offset:5376
	s_wait_loadcnt_dscnt 0x1000
	v_mul_f64_e32 v[6:7], v[2:3], v[226:227]
	v_fma_f64 v[16:17], v[0:1], v[224:225], -v[6:7]
	v_mul_f64_e32 v[0:1], v[0:1], v[226:227]
	s_delay_alu instid0(VALU_DEP_1) | instskip(SKIP_3) | instid1(VALU_DEP_1)
	v_fma_f64 v[18:19], v[2:3], v[224:225], v[0:1]
	ds_load_b128 v[0:3], v72 offset:8064
	s_wait_loadcnt_dscnt 0xf00
	v_mul_f64_e32 v[6:7], v[2:3], v[230:231]
	;; [unrolled: 7-line block ×3, first 2 shown]
	v_fma_f64 v[24:25], v[0:1], v[180:181], -v[6:7]
	v_mul_f64_e32 v[0:1], v[0:1], v[182:183]
	s_delay_alu instid0(VALU_DEP_2) | instskip(NEXT) | instid1(VALU_DEP_2)
	v_add_f64_e32 v[108:109], v[20:21], v[24:25]
	v_fma_f64 v[26:27], v[2:3], v[180:181], v[0:1]
	ds_load_b128 v[0:3], v72 offset:13440
	v_add_f64_e64 v[20:21], v[24:25], -v[20:21]
	s_wait_loadcnt_dscnt 0xd00
	v_mul_f64_e32 v[6:7], v[2:3], v[210:211]
	v_add_f64_e32 v[240:241], v[22:23], v[26:27]
	v_add_f64_e64 v[22:23], v[26:27], -v[22:23]
	s_delay_alu instid0(VALU_DEP_3) | instskip(SKIP_1) | instid1(VALU_DEP_2)
	v_fma_f64 v[28:29], v[0:1], v[208:209], -v[6:7]
	v_mul_f64_e32 v[0:1], v[0:1], v[210:211]
	v_add_f64_e32 v[106:107], v[16:17], v[28:29]
	s_delay_alu instid0(VALU_DEP_2)
	v_fma_f64 v[30:31], v[2:3], v[208:209], v[0:1]
	ds_load_b128 v[0:3], v72 offset:16128
	v_add_f64_e64 v[16:17], v[16:17], -v[28:29]
	s_wait_loadcnt_dscnt 0xc00
	v_mul_f64_e32 v[6:7], v[2:3], v[198:199]
	v_add_f64_e32 v[114:115], v[18:19], v[30:31]
	s_delay_alu instid0(VALU_DEP_2) | instskip(SKIP_1) | instid1(VALU_DEP_2)
	v_fma_f64 v[32:33], v[0:1], v[196:197], -v[6:7]
	v_mul_f64_e32 v[0:1], v[0:1], v[198:199]
	v_add_f64_e32 v[104:105], v[12:13], v[32:33]
	s_delay_alu instid0(VALU_DEP_2)
	v_fma_f64 v[34:35], v[2:3], v[196:197], v[0:1]
	ds_load_b128 v[0:3], v72 offset:3584
	v_add_f64_e64 v[24:25], v[12:13], -v[32:33]
	v_add_f64_e64 v[12:13], v[18:19], -v[30:31]
	v_add_f64_e64 v[18:19], v[20:21], -v[16:17]
	v_add_f64_e64 v[30:31], v[108:109], -v[106:107]
	s_wait_loadcnt_dscnt 0xb00
	v_mul_f64_e32 v[6:7], v[2:3], v[202:203]
	v_add_f64_e64 v[28:29], v[106:107], -v[104:105]
	v_add_f64_e32 v[112:113], v[14:15], v[34:35]
	v_add_f64_e64 v[26:27], v[14:15], -v[34:35]
	v_add_f64_e64 v[34:35], v[240:241], -v[114:115]
	v_add_f64_e32 v[14:15], v[20:21], v[16:17]
	v_mul_f64_e32 v[140:141], s[28:29], v[18:19]
	v_fma_f64 v[36:37], v[0:1], v[200:201], -v[6:7]
	v_mul_f64_e32 v[0:1], v[0:1], v[202:203]
	v_add_f64_e64 v[32:33], v[114:115], -v[112:113]
	v_add_f64_e64 v[134:135], v[12:13], -v[26:27]
	v_add_f64_e32 v[136:137], v[14:15], v[24:25]
	v_mul_f64_e32 v[14:15], s[2:3], v[34:35]
	v_fma_f64 v[38:39], v[2:3], v[200:201], v[0:1]
	ds_load_b128 v[0:3], v72 offset:6272
	v_fma_f64 v[14:15], v[32:33], s[26:27], -v[14:15]
	s_wait_loadcnt_dscnt 0xa00
	v_mul_f64_e32 v[6:7], v[2:3], v[194:195]
	s_delay_alu instid0(VALU_DEP_1) | instskip(SKIP_1) | instid1(VALU_DEP_1)
	v_fma_f64 v[40:41], v[0:1], v[192:193], -v[6:7]
	v_mul_f64_e32 v[0:1], v[0:1], v[194:195]
	v_fma_f64 v[42:43], v[2:3], v[192:193], v[0:1]
	ds_load_b128 v[0:3], v72 offset:8960
	s_wait_loadcnt_dscnt 0x900
	v_mul_f64_e32 v[6:7], v[2:3], v[186:187]
	s_delay_alu instid0(VALU_DEP_1) | instskip(SKIP_1) | instid1(VALU_DEP_1)
	v_fma_f64 v[44:45], v[0:1], v[184:185], -v[6:7]
	v_mul_f64_e32 v[0:1], v[0:1], v[186:187]
	v_fma_f64 v[46:47], v[2:3], v[184:185], v[0:1]
	ds_load_b128 v[0:3], v72 offset:11648
	s_wait_loadcnt_dscnt 0x800
	v_mul_f64_e32 v[6:7], v[2:3], v[190:191]
	s_delay_alu instid0(VALU_DEP_1) | instskip(SKIP_1) | instid1(VALU_DEP_2)
	v_fma_f64 v[48:49], v[0:1], v[188:189], -v[6:7]
	v_mul_f64_e32 v[0:1], v[0:1], v[190:191]
	v_add_f64_e32 v[248:249], v[44:45], v[48:49]
	s_delay_alu instid0(VALU_DEP_2)
	v_fma_f64 v[50:51], v[2:3], v[188:189], v[0:1]
	ds_load_b128 v[0:3], v72 offset:14336
	v_add_f64_e64 v[44:45], v[48:49], -v[44:45]
	s_wait_loadcnt_dscnt 0x700
	v_mul_f64_e32 v[6:7], v[2:3], v[206:207]
	v_add_f64_e32 v[77:78], v[46:47], v[50:51]
	v_add_f64_e64 v[46:47], v[50:51], -v[46:47]
	s_delay_alu instid0(VALU_DEP_3) | instskip(SKIP_1) | instid1(VALU_DEP_2)
	v_fma_f64 v[52:53], v[0:1], v[204:205], -v[6:7]
	v_mul_f64_e32 v[0:1], v[0:1], v[206:207]
	v_add_f64_e32 v[246:247], v[40:41], v[52:53]
	s_delay_alu instid0(VALU_DEP_2)
	v_fma_f64 v[54:55], v[2:3], v[204:205], v[0:1]
	ds_load_b128 v[0:3], v72 offset:17024
	v_add_f64_e64 v[40:41], v[40:41], -v[52:53]
	s_wait_loadcnt_dscnt 0x600
	v_mul_f64_e32 v[6:7], v[2:3], v[222:223]
	v_add_f64_e32 v[254:255], v[42:43], v[54:55]
	s_delay_alu instid0(VALU_DEP_2) | instskip(SKIP_1) | instid1(VALU_DEP_2)
	v_fma_f64 v[56:57], v[0:1], v[220:221], -v[6:7]
	v_mul_f64_e32 v[0:1], v[0:1], v[222:223]
	v_add_f64_e32 v[244:245], v[36:37], v[56:57]
	s_delay_alu instid0(VALU_DEP_2)
	v_fma_f64 v[58:59], v[2:3], v[220:221], v[0:1]
	ds_load_b128 v[0:3], v72 offset:4480
	v_add_f64_e64 v[48:49], v[36:37], -v[56:57]
	v_add_f64_e64 v[36:37], v[42:43], -v[54:55]
	;; [unrolled: 1-line block ×4, first 2 shown]
	s_wait_loadcnt_dscnt 0x500
	v_mul_f64_e32 v[6:7], v[2:3], v[218:219]
	v_add_f64_e64 v[52:53], v[246:247], -v[244:245]
	v_add_f64_e32 v[252:253], v[38:39], v[58:59]
	v_add_f64_e64 v[50:51], v[38:39], -v[58:59]
	v_add_f64_e32 v[38:39], v[44:45], v[40:41]
	v_add_f64_e64 v[58:59], v[77:78], -v[254:255]
	v_fma_f64 v[60:61], v[0:1], v[216:217], -v[6:7]
	v_mul_f64_e32 v[0:1], v[0:1], v[218:219]
	v_add_f64_e64 v[56:57], v[254:255], -v[252:253]
	s_delay_alu instid0(VALU_DEP_2) | instskip(SKIP_3) | instid1(VALU_DEP_1)
	v_fma_f64 v[62:63], v[2:3], v[216:217], v[0:1]
	ds_load_b128 v[0:3], v72 offset:7168
	s_wait_loadcnt_dscnt 0x400
	v_mul_f64_e32 v[6:7], v[2:3], v[214:215]
	v_fma_f64 v[64:65], v[0:1], v[212:213], -v[6:7]
	v_mul_f64_e32 v[0:1], v[0:1], v[214:215]
	s_delay_alu instid0(VALU_DEP_1) | instskip(SKIP_3) | instid1(VALU_DEP_1)
	v_fma_f64 v[66:67], v[2:3], v[212:213], v[0:1]
	ds_load_b128 v[0:3], v72 offset:9856
	s_wait_loadcnt_dscnt 0x300
	v_mul_f64_e32 v[6:7], v[2:3], v[174:175]
	v_fma_f64 v[68:69], v[0:1], v[172:173], -v[6:7]
	v_mul_f64_e32 v[0:1], v[0:1], v[174:175]
	s_delay_alu instid0(VALU_DEP_1) | instskip(SKIP_3) | instid1(VALU_DEP_1)
	v_fma_f64 v[70:71], v[2:3], v[172:173], v[0:1]
	ds_load_b128 v[0:3], v72 offset:12544
	s_wait_loadcnt_dscnt 0x200
	v_mul_f64_e32 v[6:7], v[2:3], v[178:179]
	v_fma_f64 v[73:74], v[0:1], v[176:177], -v[6:7]
	v_mul_f64_e32 v[0:1], v[0:1], v[178:179]
	s_delay_alu instid0(VALU_DEP_2) | instskip(NEXT) | instid1(VALU_DEP_2)
	v_add_f64_e32 v[122:123], v[68:69], v[73:74]
	v_fma_f64 v[75:76], v[2:3], v[176:177], v[0:1]
	ds_load_b128 v[0:3], v72 offset:15232
	v_add_f64_e64 v[68:69], v[73:74], -v[68:69]
	s_wait_loadcnt_dscnt 0x100
	v_mul_f64_e32 v[6:7], v[2:3], v[234:235]
	v_add_f64_e32 v[130:131], v[70:71], v[75:76]
	v_add_f64_e64 v[70:71], v[75:76], -v[70:71]
	s_delay_alu instid0(VALU_DEP_3) | instskip(SKIP_1) | instid1(VALU_DEP_2)
	v_fma_f64 v[96:97], v[0:1], v[232:233], -v[6:7]
	v_mul_f64_e32 v[0:1], v[0:1], v[234:235]
	v_add_f64_e32 v[120:121], v[64:65], v[96:97]
	s_delay_alu instid0(VALU_DEP_2)
	v_fma_f64 v[98:99], v[2:3], v[232:233], v[0:1]
	ds_load_b128 v[0:3], v72 offset:17920
	v_add_f64_e64 v[64:65], v[64:65], -v[96:97]
	s_wait_loadcnt_dscnt 0x0
	v_mul_f64_e32 v[4:5], v[2:3], v[238:239]
	v_add_f64_e64 v[96:97], v[122:123], -v[120:121]
	v_add_f64_e32 v[128:129], v[66:67], v[98:99]
	s_delay_alu instid0(VALU_DEP_3) | instskip(SKIP_2) | instid1(VALU_DEP_3)
	v_fma_f64 v[100:101], v[0:1], v[236:237], -v[4:5]
	v_mul_f64_e32 v[0:1], v[0:1], v[238:239]
	v_add_f64_e32 v[4:5], v[246:247], v[244:245]
	v_add_f64_e32 v[118:119], v[60:61], v[100:101]
	s_delay_alu instid0(VALU_DEP_3) | instskip(SKIP_1) | instid1(VALU_DEP_4)
	v_fma_f64 v[102:103], v[2:3], v[236:237], v[0:1]
	v_add_f64_e32 v[0:1], v[106:107], v[104:105]
	v_add_f64_e32 v[250:251], v[248:249], v[4:5]
	v_add_f64_e32 v[4:5], v[254:255], v[252:253]
	v_add_f64_e64 v[106:107], v[16:17], -v[24:25]
	v_add_f64_e32 v[16:17], v[22:23], v[12:13]
	v_add_f64_e64 v[104:105], v[104:105], -v[108:109]
	v_add_f64_e64 v[73:74], v[60:61], -v[100:101]
	;; [unrolled: 1-line block ×5, first 2 shown]
	v_add_f64_e32 v[8:9], v[120:121], v[118:119]
	v_add_f64_e32 v[126:127], v[62:63], v[102:103]
	;; [unrolled: 1-line block ×5, first 2 shown]
	ds_load_b128 v[4:7], v72 offset:896
	v_add_f64_e32 v[138:139], v[16:17], v[26:27]
	v_fma_f64 v[16:17], v[106:107], s[14:15], -v[140:141]
	v_add_f64_e64 v[108:109], v[112:113], -v[240:241]
	v_add_f64_e64 v[114:115], v[22:23], -v[12:13]
	;; [unrolled: 1-line block ×3, first 2 shown]
	v_mul_f64_e32 v[20:21], s[14:15], v[106:107]
	v_mul_f64_e32 v[104:105], s[18:19], v[104:105]
	;; [unrolled: 1-line block ×3, first 2 shown]
	v_add_f64_e64 v[77:78], v[252:253], -v[77:78]
	v_add_f64_e64 v[75:76], v[62:63], -v[102:103]
	v_add_f64_e32 v[62:63], v[68:69], v[64:65]
	v_add_f64_e64 v[102:103], v[64:65], -v[73:74]
	v_add_f64_e32 v[64:65], v[70:71], v[60:61]
	s_wait_dscnt 0x0
	v_add_f64_e32 v[4:5], v[4:5], v[250:251]
	v_add_f64_e32 v[124:125], v[122:123], v[8:9]
	;; [unrolled: 1-line block ×3, first 2 shown]
	v_add_f64_e64 v[98:99], v[128:129], -v[126:127]
	v_add_f64_e32 v[242:243], v[240:241], v[0:1]
	ds_load_b128 v[0:3], v72
	v_add_f64_e32 v[6:7], v[6:7], v[116:117]
	v_fma_f64 v[18:19], v[136:137], s[12:13], v[16:17]
	v_mul_f64_e32 v[106:107], s[18:19], v[108:109]
	v_mul_f64_e32 v[114:115], s[28:29], v[114:115]
	v_add_f64_e64 v[108:109], v[36:37], -v[50:51]
	v_fma_f64 v[20:21], v[112:113], s[24:25], -v[20:21]
	v_fma_f64 v[24:25], v[28:29], s[22:23], -v[104:105]
	v_fma_f64 v[12:13], v[28:29], s[26:27], -v[12:13]
	v_fma_f64 v[30:31], v[30:31], s[2:3], v[104:105]
	v_mul_f64_e32 v[77:78], s[18:19], v[77:78]
	s_wait_dscnt 0x0
	v_add_f64_e32 v[0:1], v[0:1], v[110:111]
	v_add_f64_e32 v[132:133], v[130:131], v[8:9]
	ds_load_b128 v[8:11], v72 offset:1792
	v_add_f64_e32 v[2:3], v[2:3], v[242:243]
	v_fma_f64 v[116:117], v[116:117], s[20:21], v[6:7]
	v_fma_f64 v[34:35], v[34:35], s[2:3], v[106:107]
	v_fma_f64 v[16:17], v[134:135], s[14:15], -v[114:115]
	v_fma_f64 v[28:29], v[136:137], s[12:13], v[20:21]
	s_wait_dscnt 0x0
	v_add_f64_e32 v[8:9], v[8:9], v[124:125]
	v_fma_f64 v[110:111], v[110:111], s[20:21], v[0:1]
	v_add_f64_e32 v[10:11], v[10:11], v[132:133]
	v_fma_f64 v[142:143], v[242:243], s[20:21], v[2:3]
	v_fma_f64 v[16:17], v[138:139], s[12:13], v[16:17]
	s_delay_alu instid0(VALU_DEP_4) | instskip(SKIP_1) | instid1(VALU_DEP_4)
	v_add_f64_e32 v[24:25], v[24:25], v[110:111]
	v_add_f64_e32 v[242:243], v[12:13], v[110:111]
	;; [unrolled: 1-line block ×4, first 2 shown]
	s_delay_alu instid0(VALU_DEP_3) | instskip(SKIP_1) | instid1(VALU_DEP_4)
	v_add_f64_e64 v[12:13], v[242:243], -v[16:17]
	v_add_f64_e32 v[16:17], v[16:17], v[242:243]
	v_add_f64_e32 v[14:15], v[18:19], v[144:145]
	v_add_f64_e64 v[18:19], v[144:145], -v[18:19]
	v_add_f64_e64 v[144:145], v[26:27], -v[22:23]
	v_mul_f64_e32 v[22:23], s[14:15], v[134:135]
	v_fma_f64 v[26:27], v[32:33], s[22:23], -v[106:107]
	v_add_f64_e32 v[106:107], v[30:31], v[110:111]
	v_add_f64_e32 v[110:111], v[38:39], v[48:49]
	v_mul_f64_e32 v[38:39], s[2:3], v[58:59]
	v_fma_f64 v[134:135], v[250:251], s[20:21], v[4:5]
	v_fma_f64 v[58:59], v[58:59], s[2:3], v[77:78]
	v_fma_f64 v[22:23], v[144:145], s[24:25], -v[22:23]
	v_add_f64_e32 v[26:27], v[26:27], v[142:143]
	v_fma_f64 v[38:39], v[56:57], s[26:27], -v[38:39]
	s_delay_alu instid0(VALU_DEP_4) | instskip(NEXT) | instid1(VALU_DEP_4)
	v_add_f64_e32 v[58:59], v[58:59], v[116:117]
	v_fma_f64 v[32:33], v[138:139], s[12:13], v[22:23]
	s_delay_alu instid0(VALU_DEP_4)
	v_add_f64_e64 v[22:23], v[26:27], -v[28:29]
	v_add_f64_e32 v[26:27], v[28:29], v[26:27]
	v_fma_f64 v[28:29], v[112:113], s[16:17], v[140:141]
	v_add_f64_e64 v[140:141], v[50:51], -v[46:47]
	v_add_f64_e32 v[20:21], v[32:33], v[24:25]
	v_add_f64_e64 v[24:25], v[24:25], -v[32:33]
	v_fma_f64 v[32:33], v[144:145], s[16:17], v[114:115]
	v_fma_f64 v[104:105], v[136:137], s[12:13], v[28:29]
	v_mul_f64_e32 v[114:115], s[28:29], v[42:43]
	v_mov_b32_e32 v145, v147
	s_delay_alu instid0(VALU_DEP_4) | instskip(NEXT) | instid1(VALU_DEP_4)
	v_fma_f64 v[32:33], v[138:139], s[12:13], v[32:33]
	v_add_f64_e64 v[30:31], v[34:35], -v[104:105]
	v_add_f64_e32 v[34:35], v[104:105], v[34:35]
	v_add_f64_e64 v[104:105], v[40:41], -v[48:49]
	v_add_f64_e32 v[40:41], v[46:47], v[36:37]
	v_add_f64_e32 v[138:139], v[38:39], v[116:117]
	;; [unrolled: 1-line block ×3, first 2 shown]
	v_add_f64_e64 v[32:33], v[106:107], -v[32:33]
	v_add_f64_e64 v[106:107], v[46:47], -v[36:37]
	v_mul_f64_e32 v[36:37], s[2:3], v[54:55]
	v_add_f64_e32 v[112:113], v[40:41], v[50:51]
	v_fma_f64 v[40:41], v[104:105], s[14:15], -v[114:115]
	v_mul_f64_e32 v[46:47], s[14:15], v[108:109]
	v_fma_f64 v[50:51], v[56:57], s[22:23], -v[77:78]
	v_mul_f64_e32 v[106:107], s[28:29], v[106:107]
	v_fma_f64 v[36:37], v[52:53], s[26:27], -v[36:37]
	v_fma_f64 v[42:43], v[110:111], s[12:13], v[40:41]
	v_fma_f64 v[46:47], v[140:141], s[24:25], -v[46:47]
	v_add_f64_e32 v[50:51], v[50:51], v[116:117]
	v_fma_f64 v[116:117], v[132:133], s[20:21], v[10:11]
	v_fma_f64 v[40:41], v[108:109], s[14:15], -v[106:107]
	v_add_f64_e32 v[136:137], v[36:37], v[134:135]
	v_add_f64_e32 v[108:109], v[62:63], v[73:74]
	;; [unrolled: 1-line block ×3, first 2 shown]
	v_add_f64_e64 v[42:43], v[138:139], -v[42:43]
	v_add_f64_e64 v[138:139], v[48:49], -v[44:45]
	v_mul_f64_e32 v[44:45], s[14:15], v[104:105]
	v_fma_f64 v[56:57], v[112:113], s[12:13], v[46:47]
	v_add_f64_e64 v[73:74], v[73:74], -v[68:69]
	v_mul_f64_e32 v[68:69], s[14:15], v[102:103]
	v_mul_f64_e32 v[62:63], s[2:3], v[100:101]
	v_fma_f64 v[40:41], v[112:113], s[12:13], v[40:41]
	v_fma_f64 v[44:45], v[138:139], s[24:25], -v[44:45]
	s_delay_alu instid0(VALU_DEP_4) | instskip(NEXT) | instid1(VALU_DEP_4)
	v_fma_f64 v[68:69], v[73:74], s[24:25], -v[68:69]
	v_fma_f64 v[62:63], v[98:99], s[26:27], -v[62:63]
	s_delay_alu instid0(VALU_DEP_4) | instskip(SKIP_2) | instid1(VALU_DEP_1)
	v_add_f64_e64 v[36:37], v[136:137], -v[40:41]
	v_add_f64_e32 v[40:41], v[40:41], v[136:137]
	v_add_f64_e64 v[136:137], v[244:245], -v[248:249]
	v_mul_f64_e32 v[104:105], s[18:19], v[136:137]
	s_delay_alu instid0(VALU_DEP_1) | instskip(SKIP_2) | instid1(VALU_DEP_3)
	v_fma_f64 v[48:49], v[52:53], s[22:23], -v[104:105]
	v_fma_f64 v[52:53], v[110:111], s[12:13], v[44:45]
	v_fma_f64 v[54:55], v[54:55], s[2:3], v[104:105]
	v_add_f64_e32 v[48:49], v[48:49], v[134:135]
	s_delay_alu instid0(VALU_DEP_3)
	v_add_f64_e64 v[46:47], v[50:51], -v[52:53]
	v_add_f64_e32 v[50:51], v[52:53], v[50:51]
	v_fma_f64 v[52:53], v[138:139], s[16:17], v[114:115]
	v_add_f64_e32 v[104:105], v[54:55], v[134:135]
	v_fma_f64 v[114:115], v[124:125], s[20:21], v[8:9]
	v_add_f64_e32 v[124:125], v[62:63], v[116:117]
	v_add_f64_e32 v[44:45], v[56:57], v[48:49]
	v_add_f64_e64 v[48:49], v[48:49], -v[56:57]
	v_fma_f64 v[56:57], v[140:141], s[16:17], v[106:107]
	v_fma_f64 v[77:78], v[110:111], s[12:13], v[52:53]
	v_add_f64_e64 v[106:107], v[60:61], -v[75:76]
	v_add_f64_e32 v[110:111], v[64:65], v[75:76]
	v_add_f64_e64 v[75:76], v[75:76], -v[70:71]
	v_fma_f64 v[56:57], v[112:113], s[12:13], v[56:57]
	v_mul_f64_e32 v[112:113], s[28:29], v[66:67]
	v_add_f64_e64 v[54:55], v[58:59], -v[77:78]
	v_add_f64_e32 v[58:59], v[77:78], v[58:59]
	v_add_f64_e64 v[77:78], v[120:121], -v[118:119]
	v_add_f64_e64 v[118:119], v[118:119], -v[122:123]
	v_add_f64_e32 v[52:53], v[56:57], v[104:105]
	v_add_f64_e64 v[56:57], v[104:105], -v[56:57]
	v_add_f64_e64 v[104:105], v[70:71], -v[60:61]
	v_mul_f64_e32 v[60:61], s[2:3], v[96:97]
	v_fma_f64 v[64:65], v[102:103], s[14:15], -v[112:113]
	v_mul_f64_e32 v[70:71], s[14:15], v[106:107]
	v_mul_f64_e32 v[102:103], s[18:19], v[118:119]
	v_fma_f64 v[118:119], v[108:109], s[12:13], v[68:69]
	v_fma_f64 v[73:74], v[73:74], s[16:17], v[112:113]
	v_mul_f64_e32 v[104:105], s[28:29], v[104:105]
	v_fma_f64 v[60:61], v[77:78], s[26:27], -v[60:61]
	v_fma_f64 v[66:67], v[108:109], s[12:13], v[64:65]
	v_fma_f64 v[70:71], v[75:76], s[24:25], -v[70:71]
	v_fma_f64 v[77:78], v[77:78], s[22:23], -v[102:103]
	v_fma_f64 v[73:74], v[108:109], s[12:13], v[73:74]
	v_fma_f64 v[64:65], v[106:107], s[14:15], -v[104:105]
	v_add_f64_e32 v[120:121], v[60:61], v[114:115]
	v_fma_f64 v[75:76], v[75:76], s[16:17], v[104:105]
	v_add_f64_e32 v[62:63], v[66:67], v[124:125]
	v_add_f64_e32 v[77:78], v[77:78], v[114:115]
	v_add_f64_e64 v[66:67], v[124:125], -v[66:67]
	v_fma_f64 v[64:65], v[110:111], s[12:13], v[64:65]
	v_fma_f64 v[75:76], v[110:111], s[12:13], v[75:76]
	s_delay_alu instid0(VALU_DEP_2) | instskip(SKIP_2) | instid1(VALU_DEP_1)
	v_add_f64_e64 v[60:61], v[120:121], -v[64:65]
	v_add_f64_e32 v[64:65], v[64:65], v[120:121]
	v_add_f64_e64 v[120:121], v[126:127], -v[130:131]
	v_mul_f64_e32 v[106:107], s[18:19], v[120:121]
	v_fma_f64 v[120:121], v[110:111], s[12:13], v[70:71]
	s_delay_alu instid0(VALU_DEP_2) | instskip(NEXT) | instid1(VALU_DEP_2)
	v_fma_f64 v[98:99], v[98:99], s[22:23], -v[106:107]
	v_add_f64_e32 v[68:69], v[120:121], v[77:78]
	v_add_f64_e64 v[248:249], v[77:78], -v[120:121]
	v_fma_f64 v[77:78], v[96:97], s[2:3], v[102:103]
	v_fma_f64 v[96:97], v[100:101], s[2:3], v[106:107]
	v_add_f64_e32 v[98:99], v[98:99], v[116:117]
	s_delay_alu instid0(VALU_DEP_3) | instskip(NEXT) | instid1(VALU_DEP_3)
	v_add_f64_e32 v[77:78], v[77:78], v[114:115]
	v_add_f64_e32 v[96:97], v[96:97], v[116:117]
	s_delay_alu instid0(VALU_DEP_3) | instskip(SKIP_1) | instid1(VALU_DEP_4)
	v_add_f64_e64 v[70:71], v[98:99], -v[118:119]
	v_add_f64_e32 v[250:251], v[118:119], v[98:99]
	v_add_f64_e32 v[252:253], v[75:76], v[77:78]
	s_delay_alu instid0(VALU_DEP_4)
	v_add_f64_e64 v[254:255], v[96:97], -v[73:74]
	v_add_f64_e64 v[244:245], v[77:78], -v[75:76]
	v_add_f64_e32 v[246:247], v[73:74], v[96:97]
	ds_store_b128 v72, v[0:3]
	ds_store_b128 v72, v[4:7] offset:896
	ds_store_b128 v72, v[8:11] offset:1792
	;; [unrolled: 1-line block ×20, first 2 shown]
	global_wb scope:SCOPE_SE
	s_wait_storecnt_dscnt 0x0
	s_barrier_signal -1
	s_barrier_wait -1
	global_inv scope:SCOPE_SE
	scratch_load_b64 v[0:1], off, off       ; 8-byte Folded Reload
	ds_load_b128 v[12:15], v72 offset:9408
	ds_load_b128 v[24:27], v72 offset:10304
	;; [unrolled: 1-line block ×18, first 2 shown]
	s_wait_loadcnt 0x0
	global_load_b128 v[248:251], v[0:1], off offset:18816
	ds_load_b128 v[0:3], v72
	s_wait_loadcnt_dscnt 0x0
	v_mul_f64_e32 v[4:5], v[2:3], v[250:251]
	v_mul_f64_e32 v[6:7], v[0:1], v[250:251]
	s_delay_alu instid0(VALU_DEP_2) | instskip(SKIP_1) | instid1(VALU_DEP_3)
	v_fma_f64 v[4:5], v[0:1], v[248:249], -v[4:5]
	v_mov_b32_e32 v0, v147
	v_fma_f64 v[6:7], v[2:3], v[248:249], v[6:7]
	ds_load_b128 v[248:251], v72 offset:13888
	v_lshlrev_b32_e32 v0, 4, v0
	global_load_b128 v[8:11], v0, s[0:1] offset:9408
	s_wait_loadcnt 0x0
	v_mul_f64_e32 v[1:2], v[14:15], v[10:11]
	v_mul_f64_e32 v[16:17], v[12:13], v[10:11]
	s_delay_alu instid0(VALU_DEP_2) | instskip(NEXT) | instid1(VALU_DEP_2)
	v_fma_f64 v[10:11], v[12:13], v[8:9], -v[1:2]
	v_fma_f64 v[12:13], v[14:15], v[8:9], v[16:17]
	global_load_b128 v[14:17], v0, s[0:1] offset:896
	s_wait_loadcnt 0x0
	v_mul_f64_e32 v[1:2], v[20:21], v[16:17]
	v_mul_f64_e32 v[8:9], v[18:19], v[16:17]
	s_delay_alu instid0(VALU_DEP_2) | instskip(NEXT) | instid1(VALU_DEP_2)
	v_fma_f64 v[16:17], v[18:19], v[14:15], -v[1:2]
	v_fma_f64 v[18:19], v[20:21], v[14:15], v[8:9]
	;; [unrolled: 7-line block ×10, first 2 shown]
	global_load_b128 v[68:71], v0, s[0:1] offset:13888
	s_wait_loadcnt_dscnt 0x0
	v_mul_f64_e32 v[1:2], v[250:251], v[70:71]
	v_mul_f64_e32 v[8:9], v[248:249], v[70:71]
	s_delay_alu instid0(VALU_DEP_2) | instskip(NEXT) | instid1(VALU_DEP_2)
	v_fma_f64 v[248:249], v[248:249], v[68:69], -v[1:2]
	v_fma_f64 v[250:251], v[250:251], v[68:69], v[8:9]
	global_load_b128 v[68:71], v0, s[0:1] offset:5376
	s_wait_loadcnt 0x0
	v_mul_f64_e32 v[1:2], v[254:255], v[70:71]
	v_mul_f64_e32 v[8:9], v[252:253], v[70:71]
	s_delay_alu instid0(VALU_DEP_2) | instskip(NEXT) | instid1(VALU_DEP_2)
	v_fma_f64 v[252:253], v[252:253], v[68:69], -v[1:2]
	v_fma_f64 v[254:255], v[254:255], v[68:69], v[8:9]
	global_load_b128 v[68:71], v0, s[0:1] offset:14784
	s_wait_loadcnt 0x0
	;; [unrolled: 7-line block ×8, first 2 shown]
	v_mul_f64_e32 v[1:2], v[114:115], v[70:71]
	v_mul_f64_e32 v[8:9], v[112:113], v[70:71]
	s_delay_alu instid0(VALU_DEP_2) | instskip(NEXT) | instid1(VALU_DEP_2)
	v_fma_f64 v[112:113], v[112:113], v[68:69], -v[1:2]
	v_fma_f64 v[114:115], v[114:115], v[68:69], v[8:9]
	ds_store_b128 v72, v[4:7]
	ds_store_b128 v72, v[16:19] offset:896
	ds_store_b128 v72, v[10:13] offset:9408
	;; [unrolled: 1-line block ×19, first 2 shown]
	s_and_saveexec_b32 s2, vcc_lo
	s_cbranch_execz .LBB0_17
; %bb.16:
	s_wait_alu 0xfffe
	v_add_co_u32 v4, s0, s0, v0
	s_wait_alu 0xf1ff
	v_add_co_ci_u32_e64 v5, null, s1, 0, s0
	s_clause 0x1
	global_load_b128 v[0:3], v[4:5], off offset:8960
	global_load_b128 v[4:7], v[4:5], off offset:18368
	ds_load_b128 v[8:11], v72 offset:8960
	ds_load_b128 v[12:15], v72 offset:18368
	s_wait_loadcnt_dscnt 0x101
	v_mul_f64_e32 v[16:17], v[10:11], v[2:3]
	v_mul_f64_e32 v[2:3], v[8:9], v[2:3]
	s_wait_loadcnt_dscnt 0x0
	v_mul_f64_e32 v[18:19], v[14:15], v[6:7]
	v_mul_f64_e32 v[20:21], v[12:13], v[6:7]
	s_delay_alu instid0(VALU_DEP_4) | instskip(NEXT) | instid1(VALU_DEP_4)
	v_fma_f64 v[6:7], v[8:9], v[0:1], -v[16:17]
	v_fma_f64 v[8:9], v[10:11], v[0:1], v[2:3]
	s_delay_alu instid0(VALU_DEP_4) | instskip(NEXT) | instid1(VALU_DEP_4)
	v_fma_f64 v[0:1], v[12:13], v[4:5], -v[18:19]
	v_fma_f64 v[2:3], v[14:15], v[4:5], v[20:21]
	ds_store_b128 v72, v[6:9] offset:8960
	ds_store_b128 v72, v[0:3] offset:18368
.LBB0_17:
	s_wait_alu 0xfffe
	s_or_b32 exec_lo, exec_lo, s2
	global_wb scope:SCOPE_SE
	s_wait_dscnt 0x0
	s_barrier_signal -1
	s_barrier_wait -1
	global_inv scope:SCOPE_SE
	ds_load_b128 v[64:67], v72
	ds_load_b128 v[248:251], v72 offset:896
	ds_load_b128 v[68:71], v72 offset:9408
	;; [unrolled: 1-line block ×19, first 2 shown]
	s_and_saveexec_b32 s0, vcc_lo
	s_cbranch_execz .LBB0_19
; %bb.18:
	ds_load_b128 v[244:247], v72 offset:8960
	ds_load_b128 v[73:76], v72 offset:18368
	s_wait_dscnt 0x0
	scratch_store_b128 off, v[73:76], off offset:12 ; 16-byte Folded Spill
.LBB0_19:
	s_wait_alu 0xfffe
	s_or_b32 exec_lo, exec_lo, s0
	global_wb scope:SCOPE_SE
	s_wait_storecnt_dscnt 0x0
	s_barrier_signal -1
	s_barrier_wait -1
	global_inv scope:SCOPE_SE
	scratch_load_b32 v73, off, off offset:372 th:TH_LOAD_LU ; 4-byte Folded Reload
	v_add_f64_e64 v[68:69], v[64:65], -v[68:69]
	v_add_f64_e64 v[70:71], v[66:67], -v[70:71]
	;; [unrolled: 1-line block ×16, first 2 shown]
	v_fma_f64 v[64:65], v[64:65], 2.0, -v[68:69]
	v_fma_f64 v[66:67], v[66:67], 2.0, -v[70:71]
	v_fma_f64 v[56:57], v[56:57], 2.0, -v[60:61]
	v_fma_f64 v[58:59], v[58:59], 2.0, -v[62:63]
	v_fma_f64 v[48:49], v[48:49], 2.0, -v[52:53]
	v_fma_f64 v[50:51], v[50:51], 2.0, -v[54:55]
	v_fma_f64 v[4:5], v[4:5], 2.0, -v[24:25]
	v_fma_f64 v[6:7], v[6:7], 2.0, -v[26:27]
	v_fma_f64 v[8:9], v[8:9], 2.0, -v[36:37]
	v_fma_f64 v[10:11], v[10:11], 2.0, -v[38:39]
	v_fma_f64 v[12:13], v[12:13], 2.0, -v[32:33]
	v_fma_f64 v[14:15], v[14:15], 2.0, -v[34:35]
	v_fma_f64 v[16:17], v[16:17], 2.0, -v[44:45]
	v_fma_f64 v[18:19], v[18:19], 2.0, -v[46:47]
	v_fma_f64 v[20:21], v[20:21], 2.0, -v[40:41]
	v_fma_f64 v[22:23], v[22:23], 2.0, -v[42:43]
	s_wait_loadcnt 0x0
	ds_store_b128 v73, v[68:71] offset:16
	ds_store_b128 v73, v[64:67]
	scratch_load_b32 v73, off, off offset:376 th:TH_LOAD_LU ; 4-byte Folded Reload
	v_add_f64_e64 v[64:65], v[248:249], -v[252:253]
	v_add_f64_e64 v[66:67], v[250:251], -v[254:255]
	s_delay_alu instid0(VALU_DEP_2) | instskip(NEXT) | instid1(VALU_DEP_2)
	v_fma_f64 v[68:69], v[248:249], 2.0, -v[64:65]
	v_fma_f64 v[70:71], v[250:251], 2.0, -v[66:67]
	s_wait_loadcnt 0x0
	ds_store_b128 v73, v[68:71]
	ds_store_b128 v73, v[64:67] offset:16
	scratch_load_b32 v64, off, off offset:380 th:TH_LOAD_LU ; 4-byte Folded Reload
	s_wait_loadcnt 0x0
	ds_store_b128 v64, v[56:59]
	ds_store_b128 v64, v[60:63] offset:16
	scratch_load_b32 v56, off, off offset:388 th:TH_LOAD_LU ; 4-byte Folded Reload
	s_wait_loadcnt 0x0
	ds_store_b128 v56, v[48:51]
	ds_store_b128 v56, v[52:55] offset:16
	v_add_f64_e64 v[48:49], v[0:1], -v[28:29]
	v_add_f64_e64 v[50:51], v[2:3], -v[30:31]
	s_clause 0x1
	scratch_load_b128 v[28:31], off, off offset:12 th:TH_LOAD_LU
	scratch_load_b32 v52, off, off offset:360 th:TH_LOAD_LU
	v_fma_f64 v[0:1], v[0:1], 2.0, -v[48:49]
	v_fma_f64 v[2:3], v[2:3], 2.0, -v[50:51]
	s_wait_loadcnt 0x0
	ds_store_b128 v52, v[0:3]
	ds_store_b128 v52, v[48:51] offset:16
	scratch_load_b32 v0, off, off offset:364 th:TH_LOAD_LU ; 4-byte Folded Reload
	v_add_f64_e64 v[28:29], v[244:245], -v[28:29]
	v_add_f64_e64 v[30:31], v[246:247], -v[30:31]
	s_wait_loadcnt 0x0
	ds_store_b128 v0, v[4:7]
	ds_store_b128 v0, v[24:27] offset:16
	scratch_load_b32 v0, off, off offset:384 th:TH_LOAD_LU ; 4-byte Folded Reload
	v_fma_f64 v[244:245], v[244:245], 2.0, -v[28:29]
	v_fma_f64 v[246:247], v[246:247], 2.0, -v[30:31]
	s_wait_loadcnt 0x0
	ds_store_b128 v0, v[8:11]
	ds_store_b128 v0, v[36:39] offset:16
	scratch_load_b32 v0, off, off offset:368 th:TH_LOAD_LU ; 4-byte Folded Reload
	s_wait_loadcnt 0x0
	ds_store_b128 v0, v[12:15]
	ds_store_b128 v0, v[32:35] offset:16
	scratch_load_b32 v0, off, off offset:396 th:TH_LOAD_LU ; 4-byte Folded Reload
	;; [unrolled: 4-line block ×3, first 2 shown]
	s_wait_loadcnt 0x0
	ds_store_b128 v0, v[20:23]
	ds_store_b128 v0, v[40:43] offset:16
	s_and_saveexec_b32 s0, vcc_lo
	s_cbranch_execz .LBB0_21
; %bb.20:
	scratch_load_b32 v0, off, off offset:728 th:TH_LOAD_LU ; 4-byte Folded Reload
	s_wait_loadcnt 0x0
	ds_store_b128 v0, v[244:247]
	ds_store_b128 v0, v[28:31] offset:16
.LBB0_21:
	s_wait_alu 0xfffe
	s_or_b32 exec_lo, exec_lo, s0
	global_wb scope:SCOPE_SE
	s_wait_dscnt 0x0
	s_barrier_signal -1
	s_barrier_wait -1
	global_inv scope:SCOPE_SE
	ds_load_b128 v[24:27], v72
	ds_load_b128 v[20:23], v72 offset:896
	ds_load_b128 v[68:71], v72 offset:9408
	;; [unrolled: 1-line block ×19, first 2 shown]
	s_and_saveexec_b32 s0, vcc_lo
	s_cbranch_execz .LBB0_23
; %bb.22:
	ds_load_b128 v[244:247], v72 offset:8960
	ds_load_b128 v[28:31], v72 offset:18368
.LBB0_23:
	s_wait_alu 0xfffe
	s_or_b32 exec_lo, exec_lo, s0
	s_wait_dscnt 0x11
	v_mul_f64_e32 v[73:74], v[86:87], v[70:71]
	global_wb scope:SCOPE_SE
	s_wait_dscnt 0x0
	s_barrier_signal -1
	s_barrier_wait -1
	global_inv scope:SCOPE_SE
	v_fma_f64 v[73:74], v[84:85], v[68:69], v[73:74]
	v_mul_f64_e32 v[68:69], v[86:87], v[68:69]
	s_delay_alu instid0(VALU_DEP_1) | instskip(SKIP_1) | instid1(VALU_DEP_1)
	v_fma_f64 v[68:69], v[84:85], v[70:71], -v[68:69]
	v_mul_f64_e32 v[70:71], v[86:87], v[62:63]
	v_fma_f64 v[70:71], v[84:85], v[60:61], v[70:71]
	v_mul_f64_e32 v[60:61], v[86:87], v[60:61]
	s_delay_alu instid0(VALU_DEP_1) | instskip(SKIP_1) | instid1(VALU_DEP_1)
	v_fma_f64 v[60:61], v[84:85], v[62:63], -v[60:61]
	v_mul_f64_e32 v[62:63], v[86:87], v[66:67]
	;; [unrolled: 5-line block ×9, first 2 shown]
	v_fma_f64 v[42:43], v[84:85], v[32:33], v[42:43]
	v_mul_f64_e32 v[32:33], v[86:87], v[32:33]
	s_delay_alu instid0(VALU_DEP_1)
	v_fma_f64 v[75:76], v[84:85], v[34:35], -v[32:33]
	v_mul_f64_e32 v[32:33], v[86:87], v[30:31]
	v_add_f64_e64 v[34:35], v[6:7], -v[36:37]
	v_add_f64_e64 v[36:37], v[0:1], -v[38:39]
	;; [unrolled: 1-line block ×5, first 2 shown]
	v_fma_f64 v[77:78], v[84:85], v[28:29], v[32:33]
	scratch_load_b32 v32, off, off offset:460 th:TH_LOAD_LU ; 4-byte Folded Reload
	v_mul_f64_e32 v[28:29], v[86:87], v[28:29]
	v_fma_f64 v[6:7], v[6:7], 2.0, -v[34:35]
	v_fma_f64 v[0:1], v[0:1], 2.0, -v[36:37]
	v_fma_f64 v[2:3], v[2:3], 2.0, -v[38:39]
	s_delay_alu instid0(VALU_DEP_4) | instskip(SKIP_2) | instid1(VALU_DEP_2)
	v_fma_f64 v[84:85], v[84:85], v[30:31], -v[28:29]
	v_add_f64_e64 v[28:29], v[24:25], -v[73:74]
	v_add_f64_e64 v[30:31], v[26:27], -v[68:69]
	v_fma_f64 v[24:25], v[24:25], 2.0, -v[28:29]
	s_delay_alu instid0(VALU_DEP_2)
	v_fma_f64 v[26:27], v[26:27], 2.0, -v[30:31]
	s_wait_loadcnt 0x0
	ds_store_b128 v32, v[28:31] offset:32
	ds_store_b128 v32, v[24:27]
	scratch_load_b32 v28, off, off offset:456 th:TH_LOAD_LU ; 4-byte Folded Reload
	v_add_f64_e64 v[24:25], v[20:21], -v[70:71]
	v_add_f64_e64 v[26:27], v[22:23], -v[60:61]
	;; [unrolled: 1-line block ×4, first 2 shown]
	s_delay_alu instid0(VALU_DEP_4) | instskip(NEXT) | instid1(VALU_DEP_4)
	v_fma_f64 v[20:21], v[20:21], 2.0, -v[24:25]
	v_fma_f64 v[22:23], v[22:23], 2.0, -v[26:27]
	s_delay_alu instid0(VALU_DEP_4) | instskip(NEXT) | instid1(VALU_DEP_4)
	v_fma_f64 v[10:11], v[10:11], 2.0, -v[30:31]
	v_fma_f64 v[4:5], v[4:5], 2.0, -v[32:33]
	s_wait_loadcnt 0x0
	ds_store_b128 v28, v[20:23]
	ds_store_b128 v28, v[24:27] offset:32
	scratch_load_b32 v24, off, off offset:440 th:TH_LOAD_LU ; 4-byte Folded Reload
	v_add_f64_e64 v[20:21], v[16:17], -v[62:63]
	v_add_f64_e64 v[22:23], v[18:19], -v[64:65]
	;; [unrolled: 1-line block ×3, first 2 shown]
	v_fma_f64 v[46:47], v[242:243], 2.0, -v[42:43]
	v_add_f64_e64 v[242:243], v[246:247], -v[84:85]
	v_fma_f64 v[16:17], v[16:17], 2.0, -v[20:21]
	v_fma_f64 v[18:19], v[18:19], 2.0, -v[22:23]
	;; [unrolled: 1-line block ×3, first 2 shown]
	s_wait_loadcnt 0x0
	ds_store_b128 v24, v[16:19]
	ds_store_b128 v24, v[20:23] offset:32
	scratch_load_b32 v20, off, off offset:432 th:TH_LOAD_LU ; 4-byte Folded Reload
	v_add_f64_e64 v[16:17], v[12:13], -v[66:67]
	v_add_f64_e64 v[18:19], v[14:15], -v[52:53]
	;; [unrolled: 1-line block ×3, first 2 shown]
	v_fma_f64 v[44:45], v[240:241], 2.0, -v[40:41]
	v_add_f64_e64 v[240:241], v[244:245], -v[77:78]
	v_fma_f64 v[86:87], v[246:247], 2.0, -v[242:243]
	v_fma_f64 v[12:13], v[12:13], 2.0, -v[16:17]
	;; [unrolled: 1-line block ×4, first 2 shown]
	s_wait_loadcnt 0x0
	ds_store_b128 v20, v[12:15]
	ds_store_b128 v20, v[16:19] offset:32
	scratch_load_b32 v48, off, off offset:420 th:TH_LOAD_LU ; 4-byte Folded Reload
	v_add_f64_e64 v[12:13], v[252:253], -v[54:55]
	v_add_f64_e64 v[14:15], v[254:255], -v[56:57]
	;; [unrolled: 1-line block ×3, first 2 shown]
	v_fma_f64 v[84:85], v[244:245], 2.0, -v[240:241]
	s_delay_alu instid0(VALU_DEP_4) | instskip(NEXT) | instid1(VALU_DEP_4)
	v_fma_f64 v[16:17], v[252:253], 2.0, -v[12:13]
	v_fma_f64 v[18:19], v[254:255], 2.0, -v[14:15]
	s_delay_alu instid0(VALU_DEP_4)
	v_fma_f64 v[24:25], v[248:249], 2.0, -v[20:21]
	s_wait_loadcnt 0x0
	ds_store_b128 v48, v[16:19]
	ds_store_b128 v48, v[12:15] offset:32
	scratch_load_b32 v12, off, off offset:416 th:TH_LOAD_LU ; 4-byte Folded Reload
	s_wait_loadcnt 0x0
	ds_store_b128 v12, v[24:27]
	ds_store_b128 v12, v[20:23] offset:32
	scratch_load_b32 v12, off, off offset:412 th:TH_LOAD_LU ; 4-byte Folded Reload
	;; [unrolled: 4-line block ×5, first 2 shown]
	s_wait_loadcnt 0x0
	ds_store_b128 v0, v[44:47]
	ds_store_b128 v0, v[40:43] offset:32
	s_and_saveexec_b32 s0, vcc_lo
	s_cbranch_execz .LBB0_25
; %bb.24:
	s_clause 0x1
	scratch_load_b32 v0, off, off offset:8
	scratch_load_b32 v1, off, off offset:724 th:TH_LOAD_LU
	s_wait_loadcnt 0x0
	v_and_or_b32 v0, 0x4fc, v0, v1
	s_delay_alu instid0(VALU_DEP_1)
	v_lshlrev_b32_e32 v0, 4, v0
	ds_store_b128 v0, v[84:87]
	ds_store_b128 v0, v[240:243] offset:32
.LBB0_25:
	s_wait_alu 0xfffe
	s_or_b32 exec_lo, exec_lo, s0
	global_wb scope:SCOPE_SE
	s_wait_dscnt 0x0
	s_barrier_signal -1
	s_barrier_wait -1
	global_inv scope:SCOPE_SE
	ds_load_b128 v[60:63], v72
	ds_load_b128 v[52:55], v72 offset:896
	ds_load_b128 v[64:67], v72 offset:9408
	ds_load_b128 v[56:59], v72 offset:10304
	ds_load_b128 v[44:47], v72 offset:1792
	ds_load_b128 v[36:39], v72 offset:2688
	ds_load_b128 v[48:51], v72 offset:11200
	ds_load_b128 v[40:43], v72 offset:12096
	ds_load_b128 v[8:11], v72 offset:3584
	ds_load_b128 v[4:7], v72 offset:4480
	ds_load_b128 v[32:35], v72 offset:12992
	ds_load_b128 v[24:27], v72 offset:13888
	ds_load_b128 v[0:3], v72 offset:5376
	ds_load_b128 v[252:255], v72 offset:6272
	ds_load_b128 v[28:31], v72 offset:14784
	ds_load_b128 v[16:19], v72 offset:15680
	ds_load_b128 v[248:251], v72 offset:7168
	ds_load_b128 v[244:247], v72 offset:8064
	ds_load_b128 v[20:23], v72 offset:16576
	ds_load_b128 v[12:15], v72 offset:17472
	s_and_saveexec_b32 s0, vcc_lo
	s_cbranch_execz .LBB0_27
; %bb.26:
	ds_load_b128 v[84:87], v72 offset:8960
	ds_load_b128 v[240:243], v72 offset:18368
.LBB0_27:
	s_wait_alu 0xfffe
	s_or_b32 exec_lo, exec_lo, s0
	s_wait_dscnt 0x11
	v_mul_f64_e32 v[68:69], v[82:83], v[66:67]
	global_wb scope:SCOPE_SE
	s_wait_dscnt 0x0
	s_barrier_signal -1
	s_barrier_wait -1
	global_inv scope:SCOPE_SE
	v_fma_f64 v[68:69], v[80:81], v[64:65], v[68:69]
	v_mul_f64_e32 v[64:65], v[82:83], v[64:65]
	s_delay_alu instid0(VALU_DEP_1) | instskip(NEXT) | instid1(VALU_DEP_3)
	v_fma_f64 v[66:67], v[80:81], v[66:67], -v[64:65]
	v_add_f64_e64 v[64:65], v[60:61], -v[68:69]
	scratch_load_b32 v68, off, off offset:472 th:TH_LOAD_LU ; 4-byte Folded Reload
	v_add_f64_e64 v[66:67], v[62:63], -v[66:67]
	v_fma_f64 v[60:61], v[60:61], 2.0, -v[64:65]
	s_delay_alu instid0(VALU_DEP_2) | instskip(SKIP_4) | instid1(VALU_DEP_1)
	v_fma_f64 v[62:63], v[62:63], 2.0, -v[66:67]
	s_wait_loadcnt 0x0
	ds_store_b128 v68, v[64:67] offset:64
	ds_store_b128 v68, v[60:63]
	v_mul_f64_e32 v[60:61], v[82:83], v[58:59]
	v_fma_f64 v[60:61], v[80:81], v[56:57], v[60:61]
	v_mul_f64_e32 v[56:57], v[82:83], v[56:57]
	s_delay_alu instid0(VALU_DEP_1) | instskip(NEXT) | instid1(VALU_DEP_3)
	v_fma_f64 v[58:59], v[80:81], v[58:59], -v[56:57]
	v_add_f64_e64 v[56:57], v[52:53], -v[60:61]
	scratch_load_b32 v60, off, off offset:476 th:TH_LOAD_LU ; 4-byte Folded Reload
	v_add_f64_e64 v[58:59], v[54:55], -v[58:59]
	v_fma_f64 v[52:53], v[52:53], 2.0, -v[56:57]
	s_delay_alu instid0(VALU_DEP_2) | instskip(SKIP_4) | instid1(VALU_DEP_1)
	v_fma_f64 v[54:55], v[54:55], 2.0, -v[58:59]
	s_wait_loadcnt 0x0
	ds_store_b128 v60, v[52:55]
	ds_store_b128 v60, v[56:59] offset:64
	v_mul_f64_e32 v[52:53], v[82:83], v[50:51]
	v_fma_f64 v[52:53], v[80:81], v[48:49], v[52:53]
	v_mul_f64_e32 v[48:49], v[82:83], v[48:49]
	s_delay_alu instid0(VALU_DEP_1) | instskip(NEXT) | instid1(VALU_DEP_3)
	v_fma_f64 v[50:51], v[80:81], v[50:51], -v[48:49]
	v_add_f64_e64 v[48:49], v[44:45], -v[52:53]
	scratch_load_b32 v52, off, off offset:468 th:TH_LOAD_LU ; 4-byte Folded Reload
	v_add_f64_e64 v[50:51], v[46:47], -v[50:51]
	v_fma_f64 v[44:45], v[44:45], 2.0, -v[48:49]
	s_delay_alu instid0(VALU_DEP_2) | instskip(SKIP_4) | instid1(VALU_DEP_1)
	v_fma_f64 v[46:47], v[46:47], 2.0, -v[50:51]
	s_wait_loadcnt 0x0
	ds_store_b128 v52, v[44:47]
	ds_store_b128 v52, v[48:51] offset:64
	v_mul_f64_e32 v[44:45], v[82:83], v[42:43]
	v_fma_f64 v[44:45], v[80:81], v[40:41], v[44:45]
	v_mul_f64_e32 v[40:41], v[82:83], v[40:41]
	s_delay_alu instid0(VALU_DEP_1) | instskip(NEXT) | instid1(VALU_DEP_3)
	v_fma_f64 v[42:43], v[80:81], v[42:43], -v[40:41]
	v_add_f64_e64 v[40:41], v[36:37], -v[44:45]
	scratch_load_b32 v44, off, off offset:464 th:TH_LOAD_LU ; 4-byte Folded Reload
	v_add_f64_e64 v[42:43], v[38:39], -v[42:43]
	v_fma_f64 v[36:37], v[36:37], 2.0, -v[40:41]
	s_delay_alu instid0(VALU_DEP_2)
	v_fma_f64 v[38:39], v[38:39], 2.0, -v[42:43]
	s_wait_loadcnt 0x0
	ds_store_b128 v44, v[36:39]
	ds_store_b128 v44, v[40:43] offset:64
	v_mul_f64_e32 v[36:37], v[82:83], v[34:35]
	scratch_load_b32 v48, off, off offset:452 th:TH_LOAD_LU ; 4-byte Folded Reload
	v_fma_f64 v[36:37], v[80:81], v[32:33], v[36:37]
	v_mul_f64_e32 v[32:33], v[82:83], v[32:33]
	s_delay_alu instid0(VALU_DEP_1) | instskip(SKIP_1) | instid1(VALU_DEP_1)
	v_fma_f64 v[32:33], v[80:81], v[34:35], -v[32:33]
	v_mul_f64_e32 v[34:35], v[82:83], v[26:27]
	v_fma_f64 v[34:35], v[80:81], v[24:25], v[34:35]
	v_mul_f64_e32 v[24:25], v[82:83], v[24:25]
	s_delay_alu instid0(VALU_DEP_1) | instskip(SKIP_1) | instid1(VALU_DEP_1)
	v_fma_f64 v[24:25], v[80:81], v[26:27], -v[24:25]
	v_mul_f64_e32 v[26:27], v[82:83], v[30:31]
	;; [unrolled: 5-line block ×3, first 2 shown]
	v_fma_f64 v[30:31], v[80:81], v[16:17], v[30:31]
	v_mul_f64_e32 v[16:17], v[82:83], v[16:17]
	s_delay_alu instid0(VALU_DEP_1) | instskip(SKIP_3) | instid1(VALU_DEP_3)
	v_fma_f64 v[38:39], v[80:81], v[18:19], -v[16:17]
	v_mul_f64_e32 v[16:17], v[82:83], v[22:23]
	v_add_f64_e64 v[18:19], v[6:7], -v[24:25]
	v_add_f64_e64 v[24:25], v[252:253], -v[30:31]
	v_fma_f64 v[40:41], v[80:81], v[20:21], v[16:17]
	v_mul_f64_e32 v[16:17], v[82:83], v[20:21]
	s_delay_alu instid0(VALU_DEP_4) | instskip(SKIP_2) | instid1(VALU_DEP_4)
	v_fma_f64 v[6:7], v[6:7], 2.0, -v[18:19]
	v_add_f64_e64 v[20:21], v[0:1], -v[26:27]
	v_add_f64_e64 v[26:27], v[254:255], -v[38:39]
	v_fma_f64 v[42:43], v[80:81], v[22:23], -v[16:17]
	v_mul_f64_e32 v[16:17], v[82:83], v[14:15]
	v_add_f64_e64 v[22:23], v[2:3], -v[28:29]
	v_fma_f64 v[0:1], v[0:1], 2.0, -v[20:21]
	v_fma_f64 v[28:29], v[252:253], 2.0, -v[24:25]
	;; [unrolled: 1-line block ×3, first 2 shown]
	v_fma_f64 v[44:45], v[80:81], v[12:13], v[16:17]
	v_mul_f64_e32 v[12:13], v[82:83], v[12:13]
	v_add_f64_e64 v[16:17], v[4:5], -v[34:35]
	v_fma_f64 v[2:3], v[2:3], 2.0, -v[22:23]
	v_add_f64_e64 v[34:35], v[250:251], -v[42:43]
	s_delay_alu instid0(VALU_DEP_4)
	v_fma_f64 v[46:47], v[80:81], v[14:15], -v[12:13]
	v_add_f64_e64 v[12:13], v[8:9], -v[36:37]
	v_add_f64_e64 v[14:15], v[10:11], -v[32:33]
	v_fma_f64 v[4:5], v[4:5], 2.0, -v[16:17]
	v_add_f64_e64 v[32:33], v[248:249], -v[40:41]
	v_fma_f64 v[38:39], v[250:251], 2.0, -v[34:35]
	v_add_f64_e64 v[40:41], v[244:245], -v[44:45]
	v_add_f64_e64 v[42:43], v[246:247], -v[46:47]
	v_fma_f64 v[8:9], v[8:9], 2.0, -v[12:13]
	v_fma_f64 v[10:11], v[10:11], 2.0, -v[14:15]
	s_wait_loadcnt 0x0
	ds_store_b128 v48, v[8:11]
	ds_store_b128 v48, v[12:15] offset:64
	scratch_load_b32 v8, off, off offset:448 th:TH_LOAD_LU ; 4-byte Folded Reload
	v_fma_f64 v[36:37], v[248:249], 2.0, -v[32:33]
	v_fma_f64 v[44:45], v[244:245], 2.0, -v[40:41]
	;; [unrolled: 1-line block ×3, first 2 shown]
	s_wait_loadcnt 0x0
	ds_store_b128 v8, v[4:7]
	ds_store_b128 v8, v[16:19] offset:64
	scratch_load_b32 v4, off, off offset:444 th:TH_LOAD_LU ; 4-byte Folded Reload
	s_wait_loadcnt 0x0
	ds_store_b128 v4, v[0:3]
	ds_store_b128 v4, v[20:23] offset:64
	scratch_load_b32 v0, off, off offset:436 th:TH_LOAD_LU ; 4-byte Folded Reload
	;; [unrolled: 4-line block ×4, first 2 shown]
	s_wait_loadcnt 0x0
	ds_store_b128 v0, v[44:47]
	ds_store_b128 v0, v[40:43] offset:64
	s_and_saveexec_b32 s0, vcc_lo
	s_cbranch_execz .LBB0_29
; %bb.28:
	s_clause 0x1
	scratch_load_b32 v8, off, off offset:8 th:TH_LOAD_LU
	scratch_load_b32 v9, off, off offset:720 th:TH_LOAD_LU
	v_mul_f64_e32 v[0:1], v[82:83], v[240:241]
	v_mul_f64_e32 v[2:3], v[82:83], v[242:243]
	s_delay_alu instid0(VALU_DEP_2) | instskip(NEXT) | instid1(VALU_DEP_2)
	v_fma_f64 v[0:1], v[80:81], v[242:243], -v[0:1]
	v_fma_f64 v[4:5], v[80:81], v[240:241], v[2:3]
	s_delay_alu instid0(VALU_DEP_2) | instskip(NEXT) | instid1(VALU_DEP_2)
	v_add_f64_e64 v[2:3], v[86:87], -v[0:1]
	v_add_f64_e64 v[0:1], v[84:85], -v[4:5]
	s_delay_alu instid0(VALU_DEP_2) | instskip(NEXT) | instid1(VALU_DEP_2)
	v_fma_f64 v[6:7], v[86:87], 2.0, -v[2:3]
	v_fma_f64 v[4:5], v[84:85], 2.0, -v[0:1]
	s_wait_loadcnt 0x0
	v_and_or_b32 v8, 0x4f8, v8, v9
	s_delay_alu instid0(VALU_DEP_1)
	v_lshlrev_b32_e32 v8, 4, v8
	ds_store_b128 v8, v[4:7]
	ds_store_b128 v8, v[0:3] offset:64
.LBB0_29:
	s_wait_alu 0xfffe
	s_or_b32 exec_lo, exec_lo, s0
	global_wb scope:SCOPE_SE
	s_wait_dscnt 0x0
	s_barrier_signal -1
	s_barrier_wait -1
	global_inv scope:SCOPE_SE
	ds_load_b128 v[0:3], v72 offset:6272
	s_mov_b32 s0, 0xe8584caa
	s_mov_b32 s1, 0xbfebb67a
	;; [unrolled: 1-line block ×3, first 2 shown]
	s_wait_alu 0xfffe
	s_mov_b32 s2, s0
	s_mov_b32 s20, 0x37e14327
	;; [unrolled: 1-line block ×12, first 2 shown]
	s_wait_alu 0xfffe
	s_mov_b32 s24, s18
	s_mov_b32 s22, s12
	;; [unrolled: 1-line block ×4, first 2 shown]
	s_wait_dscnt 0x0
	v_mul_f64_e32 v[4:5], v[94:95], v[2:3]
	s_delay_alu instid0(VALU_DEP_1) | instskip(SKIP_1) | instid1(VALU_DEP_1)
	v_fma_f64 v[4:5], v[92:93], v[0:1], v[4:5]
	v_mul_f64_e32 v[0:1], v[94:95], v[0:1]
	v_fma_f64 v[6:7], v[92:93], v[2:3], -v[0:1]
	ds_load_b128 v[0:3], v72 offset:7168
	s_wait_dscnt 0x0
	v_mul_f64_e32 v[8:9], v[94:95], v[2:3]
	s_delay_alu instid0(VALU_DEP_1) | instskip(SKIP_1) | instid1(VALU_DEP_1)
	v_fma_f64 v[36:37], v[92:93], v[0:1], v[8:9]
	v_mul_f64_e32 v[0:1], v[94:95], v[0:1]
	v_fma_f64 v[38:39], v[92:93], v[2:3], -v[0:1]
	ds_load_b128 v[0:3], v72 offset:8064
	;; [unrolled: 7-line block ×8, first 2 shown]
	s_wait_dscnt 0x0
	v_mul_f64_e32 v[12:13], v[90:91], v[2:3]
	v_add_f64_e32 v[14:15], v[6:7], v[10:11]
	s_delay_alu instid0(VALU_DEP_2) | instskip(SKIP_1) | instid1(VALU_DEP_1)
	v_fma_f64 v[60:61], v[88:89], v[0:1], v[12:13]
	v_mul_f64_e32 v[0:1], v[90:91], v[0:1]
	v_fma_f64 v[62:63], v[88:89], v[2:3], -v[0:1]
	ds_load_b128 v[0:3], v72 offset:14336
	s_wait_dscnt 0x0
	v_mul_f64_e32 v[12:13], v[90:91], v[2:3]
	s_delay_alu instid0(VALU_DEP_1) | instskip(SKIP_1) | instid1(VALU_DEP_1)
	v_fma_f64 v[64:65], v[88:89], v[0:1], v[12:13]
	v_mul_f64_e32 v[0:1], v[90:91], v[0:1]
	v_fma_f64 v[66:67], v[88:89], v[2:3], -v[0:1]
	ds_load_b128 v[0:3], v72 offset:15232
	s_wait_dscnt 0x0
	v_mul_f64_e32 v[12:13], v[90:91], v[2:3]
	s_delay_alu instid0(VALU_DEP_1) | instskip(SKIP_1) | instid1(VALU_DEP_1)
	;; [unrolled: 7-line block ×4, first 2 shown]
	v_fma_f64 v[77:78], v[88:89], v[0:1], v[12:13]
	v_mul_f64_e32 v[0:1], v[90:91], v[0:1]
	v_fma_f64 v[80:81], v[88:89], v[2:3], -v[0:1]
	ds_load_b128 v[0:3], v72 offset:17920
	s_wait_dscnt 0x0
	v_mul_f64_e32 v[12:13], v[90:91], v[2:3]
	s_delay_alu instid0(VALU_DEP_1) | instskip(SKIP_2) | instid1(VALU_DEP_2)
	v_fma_f64 v[82:83], v[88:89], v[0:1], v[12:13]
	v_mul_f64_e32 v[0:1], v[90:91], v[0:1]
	v_add_f64_e32 v[12:13], v[4:5], v[8:9]
	v_fma_f64 v[84:85], v[88:89], v[2:3], -v[0:1]
	ds_load_b128 v[0:3], v72
	s_wait_dscnt 0x0
	v_fma_f64 v[14:15], v[14:15], -0.5, v[2:3]
	v_add_f64_e32 v[2:3], v[2:3], v[6:7]
	v_fma_f64 v[12:13], v[12:13], -0.5, v[0:1]
	v_add_f64_e32 v[0:1], v[0:1], v[4:5]
	v_add_f64_e64 v[6:7], v[6:7], -v[10:11]
	s_delay_alu instid0(VALU_DEP_4) | instskip(SKIP_1) | instid1(VALU_DEP_4)
	v_add_f64_e32 v[2:3], v[2:3], v[10:11]
	v_add_f64_e64 v[10:11], v[4:5], -v[8:9]
	v_add_f64_e32 v[0:1], v[0:1], v[8:9]
	s_delay_alu instid0(VALU_DEP_4) | instskip(SKIP_1) | instid1(VALU_DEP_4)
	v_fma_f64 v[4:5], v[6:7], s[0:1], v[12:13]
	v_fma_f64 v[8:9], v[6:7], s[2:3], v[12:13]
	;; [unrolled: 1-line block ×4, first 2 shown]
	ds_load_b128 v[12:15], v72 offset:5376
	ds_load_b128 v[16:19], v72 offset:896
	ds_load_b128 v[20:23], v72 offset:1792
	ds_load_b128 v[24:27], v72 offset:2688
	ds_load_b128 v[28:31], v72 offset:3584
	ds_load_b128 v[32:35], v72 offset:4480
	global_wb scope:SCOPE_SE
	s_wait_dscnt 0x0
	s_barrier_signal -1
	s_barrier_wait -1
	global_inv scope:SCOPE_SE
	scratch_load_b32 v86, off, off offset:712 th:TH_LOAD_LU ; 4-byte Folded Reload
	s_wait_loadcnt 0x0
	ds_store_b128 v86, v[0:3]
	ds_store_b128 v86, v[4:7] offset:128
	ds_store_b128 v86, v[8:11] offset:256
	v_add_f64_e32 v[0:1], v[36:37], v[60:61]
	v_add_f64_e32 v[4:5], v[16:17], v[36:37]
	v_add_f64_e64 v[8:9], v[38:39], -v[62:63]
	s_delay_alu instid0(VALU_DEP_3) | instskip(SKIP_2) | instid1(VALU_DEP_2)
	v_fma_f64 v[6:7], v[0:1], -0.5, v[16:17]
	v_add_f64_e32 v[0:1], v[38:39], v[62:63]
	v_add_f64_e64 v[16:17], v[36:37], -v[60:61]
	v_fma_f64 v[10:11], v[0:1], -0.5, v[18:19]
	v_add_f64_e32 v[0:1], v[18:19], v[38:39]
	s_delay_alu instid0(VALU_DEP_1)
	v_add_f64_e32 v[2:3], v[0:1], v[62:63]
	v_add_f64_e32 v[0:1], v[4:5], v[60:61]
	v_fma_f64 v[4:5], v[8:9], s[0:1], v[6:7]
	v_fma_f64 v[8:9], v[8:9], s[2:3], v[6:7]
	v_fma_f64 v[6:7], v[16:17], s[2:3], v[10:11]
	v_fma_f64 v[10:11], v[16:17], s[0:1], v[10:11]
	scratch_load_b32 v16, off, off offset:708 th:TH_LOAD_LU ; 4-byte Folded Reload
	s_wait_loadcnt 0x0
	ds_store_b128 v16, v[0:3]
	ds_store_b128 v16, v[4:7] offset:128
	ds_store_b128 v16, v[8:11] offset:256
	v_add_f64_e32 v[0:1], v[40:41], v[64:65]
	v_add_f64_e32 v[4:5], v[20:21], v[40:41]
	v_add_f64_e64 v[8:9], v[42:43], -v[66:67]
	v_add_f64_e64 v[16:17], v[40:41], -v[64:65]
	s_delay_alu instid0(VALU_DEP_4) | instskip(SKIP_1) | instid1(VALU_DEP_1)
	v_fma_f64 v[6:7], v[0:1], -0.5, v[20:21]
	v_add_f64_e32 v[0:1], v[42:43], v[66:67]
	v_fma_f64 v[10:11], v[0:1], -0.5, v[22:23]
	v_add_f64_e32 v[0:1], v[22:23], v[42:43]
	s_delay_alu instid0(VALU_DEP_1)
	v_add_f64_e32 v[2:3], v[0:1], v[66:67]
	v_add_f64_e32 v[0:1], v[4:5], v[64:65]
	v_fma_f64 v[4:5], v[8:9], s[0:1], v[6:7]
	v_fma_f64 v[8:9], v[8:9], s[2:3], v[6:7]
	v_fma_f64 v[6:7], v[16:17], s[2:3], v[10:11]
	v_fma_f64 v[10:11], v[16:17], s[0:1], v[10:11]
	scratch_load_b32 v16, off, off offset:704 th:TH_LOAD_LU ; 4-byte Folded Reload
	s_wait_loadcnt 0x0
	ds_store_b128 v16, v[0:3]
	ds_store_b128 v16, v[4:7] offset:128
	ds_store_b128 v16, v[8:11] offset:256
	v_add_f64_e32 v[0:1], v[44:45], v[68:69]
	v_add_f64_e32 v[4:5], v[24:25], v[44:45]
	v_add_f64_e64 v[8:9], v[46:47], -v[70:71]
	v_add_f64_e64 v[16:17], v[44:45], -v[68:69]
	s_delay_alu instid0(VALU_DEP_4) | instskip(SKIP_1) | instid1(VALU_DEP_1)
	v_fma_f64 v[6:7], v[0:1], -0.5, v[24:25]
	v_add_f64_e32 v[0:1], v[46:47], v[70:71]
	;; [unrolled: 21-line block ×4, first 2 shown]
	v_fma_f64 v[10:11], v[0:1], -0.5, v[34:35]
	v_add_f64_e32 v[0:1], v[34:35], v[54:55]
	s_delay_alu instid0(VALU_DEP_1)
	v_add_f64_e32 v[2:3], v[0:1], v[80:81]
	v_add_f64_e32 v[0:1], v[4:5], v[77:78]
	v_fma_f64 v[4:5], v[8:9], s[0:1], v[6:7]
	v_fma_f64 v[8:9], v[8:9], s[2:3], v[6:7]
	;; [unrolled: 1-line block ×4, first 2 shown]
	scratch_load_b32 v16, off, off offset:692 th:TH_LOAD_LU ; 4-byte Folded Reload
	s_wait_loadcnt 0x0
	ds_store_b128 v16, v[0:3]
	ds_store_b128 v16, v[4:7] offset:128
	ds_store_b128 v16, v[8:11] offset:256
	v_add_f64_e32 v[0:1], v[56:57], v[82:83]
	v_add_f64_e32 v[4:5], v[12:13], v[56:57]
	v_add_f64_e64 v[8:9], v[58:59], -v[84:85]
	s_delay_alu instid0(VALU_DEP_3) | instskip(SKIP_2) | instid1(VALU_DEP_2)
	v_fma_f64 v[6:7], v[0:1], -0.5, v[12:13]
	v_add_f64_e32 v[0:1], v[58:59], v[84:85]
	v_add_f64_e64 v[12:13], v[56:57], -v[82:83]
	v_fma_f64 v[10:11], v[0:1], -0.5, v[14:15]
	v_add_f64_e32 v[0:1], v[14:15], v[58:59]
	s_delay_alu instid0(VALU_DEP_1)
	v_add_f64_e32 v[2:3], v[0:1], v[84:85]
	v_add_f64_e32 v[0:1], v[4:5], v[82:83]
	v_fma_f64 v[4:5], v[8:9], s[0:1], v[6:7]
	v_fma_f64 v[8:9], v[8:9], s[2:3], v[6:7]
	;; [unrolled: 1-line block ×4, first 2 shown]
	scratch_load_b32 v12, off, off offset:688 th:TH_LOAD_LU ; 4-byte Folded Reload
	s_mov_b32 s2, 0x429ad128
	s_mov_b32 s3, 0xbfebfeb5
	;; [unrolled: 1-line block ×4, first 2 shown]
	s_wait_loadcnt 0x0
	ds_store_b128 v12, v[0:3]
	ds_store_b128 v12, v[4:7] offset:128
	ds_store_b128 v12, v[8:11] offset:256
	global_wb scope:SCOPE_SE
	s_wait_dscnt 0x0
	s_barrier_signal -1
	s_barrier_wait -1
	global_inv scope:SCOPE_SE
	scratch_load_b128 v[6:9], off, off offset:528 th:TH_LOAD_LU ; 16-byte Folded Reload
	ds_load_b128 v[0:3], v72 offset:2688
	ds_load_b128 v[16:19], v72 offset:12544
	s_clause 0x2
	scratch_load_b128 v[12:15], off, off offset:656 th:TH_LOAD_LU
	scratch_load_b128 v[48:51], off, off offset:608 th:TH_LOAD_LU
	;; [unrolled: 1-line block ×3, first 2 shown]
	ds_load_b128 v[20:23], v72 offset:15232
	s_wait_loadcnt_dscnt 0x302
	v_mul_f64_e32 v[4:5], v[8:9], v[2:3]
	s_delay_alu instid0(VALU_DEP_1) | instskip(SKIP_1) | instid1(VALU_DEP_1)
	v_fma_f64 v[60:61], v[6:7], v[0:1], v[4:5]
	v_mul_f64_e32 v[0:1], v[8:9], v[0:1]
	v_fma_f64 v[62:63], v[6:7], v[2:3], -v[0:1]
	scratch_load_b128 v[6:9], off, off offset:512 th:TH_LOAD_LU ; 16-byte Folded Reload
	ds_load_b128 v[0:3], v72 offset:5376
	s_wait_loadcnt_dscnt 0x0
	v_mul_f64_e32 v[4:5], v[8:9], v[2:3]
	s_delay_alu instid0(VALU_DEP_1) | instskip(SKIP_1) | instid1(VALU_DEP_1)
	v_fma_f64 v[64:65], v[6:7], v[0:1], v[4:5]
	v_mul_f64_e32 v[0:1], v[8:9], v[0:1]
	v_fma_f64 v[66:67], v[6:7], v[2:3], -v[0:1]
	scratch_load_b128 v[6:9], off, off offset:496 th:TH_LOAD_LU ; 16-byte Folded Reload
	ds_load_b128 v[0:3], v72 offset:8064
	s_wait_dscnt 0x0
	v_mul_f64_e32 v[4:5], v[154:155], v[2:3]
	s_delay_alu instid0(VALU_DEP_1) | instskip(SKIP_1) | instid1(VALU_DEP_1)
	v_fma_f64 v[68:69], v[152:153], v[0:1], v[4:5]
	v_mul_f64_e32 v[0:1], v[154:155], v[0:1]
	v_fma_f64 v[70:71], v[152:153], v[2:3], -v[0:1]
	ds_load_b128 v[0:3], v72 offset:10752
	s_wait_dscnt 0x0
	v_mul_f64_e32 v[4:5], v[150:151], v[2:3]
	s_delay_alu instid0(VALU_DEP_1) | instskip(SKIP_1) | instid1(VALU_DEP_1)
	v_fma_f64 v[73:74], v[148:149], v[0:1], v[4:5]
	v_mul_f64_e32 v[0:1], v[150:151], v[0:1]
	v_fma_f64 v[75:76], v[148:149], v[2:3], -v[0:1]
	ds_load_b128 v[0:3], v72 offset:13440
	s_wait_loadcnt_dscnt 0x0
	v_mul_f64_e32 v[4:5], v[8:9], v[2:3]
	s_delay_alu instid0(VALU_DEP_1) | instskip(SKIP_1) | instid1(VALU_DEP_2)
	v_fma_f64 v[77:78], v[6:7], v[0:1], v[4:5]
	v_mul_f64_e32 v[0:1], v[8:9], v[0:1]
	v_add_f64_e32 v[90:91], v[64:65], v[77:78]
	s_delay_alu instid0(VALU_DEP_2)
	v_fma_f64 v[84:85], v[6:7], v[2:3], -v[0:1]
	scratch_load_b128 v[6:9], off, off offset:480 th:TH_LOAD_LU ; 16-byte Folded Reload
	ds_load_b128 v[0:3], v72 offset:16128
	v_add_f64_e32 v[94:95], v[66:67], v[84:85]
	s_wait_loadcnt_dscnt 0x0
	v_mul_f64_e32 v[4:5], v[8:9], v[2:3]
	s_delay_alu instid0(VALU_DEP_1) | instskip(SKIP_1) | instid1(VALU_DEP_1)
	v_fma_f64 v[86:87], v[6:7], v[0:1], v[4:5]
	v_mul_f64_e32 v[0:1], v[8:9], v[0:1]
	v_fma_f64 v[88:89], v[6:7], v[2:3], -v[0:1]
	scratch_load_b128 v[6:9], off, off offset:576 th:TH_LOAD_LU ; 16-byte Folded Reload
	ds_load_b128 v[0:3], v72 offset:3584
	s_wait_loadcnt_dscnt 0x0
	v_mul_f64_e32 v[4:5], v[8:9], v[2:3]
	s_delay_alu instid0(VALU_DEP_1) | instskip(SKIP_1) | instid1(VALU_DEP_1)
	v_fma_f64 v[26:27], v[6:7], v[0:1], v[4:5]
	v_mul_f64_e32 v[0:1], v[8:9], v[0:1]
	v_fma_f64 v[24:25], v[6:7], v[2:3], -v[0:1]
	scratch_load_b128 v[6:9], off, off offset:624 th:TH_LOAD_LU ; 16-byte Folded Reload
	ds_load_b128 v[0:3], v72 offset:6272
	;; [unrolled: 8-line block ×3, first 2 shown]
	s_wait_dscnt 0x0
	v_mul_f64_e32 v[4:5], v[158:159], v[2:3]
	s_delay_alu instid0(VALU_DEP_1) | instskip(SKIP_1) | instid1(VALU_DEP_1)
	v_fma_f64 v[34:35], v[156:157], v[0:1], v[4:5]
	v_mul_f64_e32 v[0:1], v[158:159], v[0:1]
	v_fma_f64 v[32:33], v[156:157], v[2:3], -v[0:1]
	ds_load_b128 v[0:3], v72 offset:11648
	s_wait_dscnt 0x0
	v_mul_f64_e32 v[4:5], v[166:167], v[2:3]
	s_delay_alu instid0(VALU_DEP_1) | instskip(SKIP_1) | instid1(VALU_DEP_1)
	v_fma_f64 v[38:39], v[164:165], v[0:1], v[4:5]
	v_mul_f64_e32 v[0:1], v[166:167], v[0:1]
	v_fma_f64 v[36:37], v[164:165], v[2:3], -v[0:1]
	ds_load_b128 v[0:3], v72 offset:14336
	s_wait_loadcnt_dscnt 0x0
	v_mul_f64_e32 v[4:5], v[8:9], v[2:3]
	s_delay_alu instid0(VALU_DEP_1) | instskip(SKIP_1) | instid1(VALU_DEP_1)
	v_fma_f64 v[42:43], v[6:7], v[0:1], v[4:5]
	v_mul_f64_e32 v[0:1], v[8:9], v[0:1]
	v_fma_f64 v[40:41], v[6:7], v[2:3], -v[0:1]
	scratch_load_b128 v[6:9], off, off offset:560 th:TH_LOAD_LU ; 16-byte Folded Reload
	ds_load_b128 v[0:3], v72 offset:17024
	s_wait_loadcnt_dscnt 0x0
	v_mul_f64_e32 v[4:5], v[8:9], v[2:3]
	s_delay_alu instid0(VALU_DEP_1)
	v_fma_f64 v[46:47], v[6:7], v[0:1], v[4:5]
	v_mul_f64_e32 v[0:1], v[8:9], v[0:1]
	scratch_load_b128 v[8:11], off, off offset:640 th:TH_LOAD_LU ; 16-byte Folded Reload
	v_fma_f64 v[44:45], v[6:7], v[2:3], -v[0:1]
	ds_load_b128 v[4:7], v72 offset:4480
	s_wait_loadcnt_dscnt 0x0
	v_mul_f64_e32 v[0:1], v[10:11], v[6:7]
	s_delay_alu instid0(VALU_DEP_1) | instskip(SKIP_1) | instid1(VALU_DEP_1)
	v_fma_f64 v[2:3], v[8:9], v[4:5], v[0:1]
	v_mul_f64_e32 v[0:1], v[10:11], v[4:5]
	v_fma_f64 v[0:1], v[8:9], v[6:7], -v[0:1]
	ds_load_b128 v[8:11], v72 offset:7168
	s_wait_dscnt 0x0
	v_mul_f64_e32 v[4:5], v[14:15], v[10:11]
	s_delay_alu instid0(VALU_DEP_1) | instskip(SKIP_1) | instid1(VALU_DEP_1)
	v_fma_f64 v[6:7], v[12:13], v[8:9], v[4:5]
	v_mul_f64_e32 v[4:5], v[14:15], v[8:9]
	v_fma_f64 v[4:5], v[12:13], v[10:11], -v[4:5]
	ds_load_b128 v[12:15], v72 offset:9856
	s_wait_dscnt 0x0
	v_mul_f64_e32 v[8:9], v[162:163], v[14:15]
	s_delay_alu instid0(VALU_DEP_1) | instskip(SKIP_2) | instid1(VALU_DEP_2)
	v_fma_f64 v[10:11], v[160:161], v[12:13], v[8:9]
	v_mul_f64_e32 v[8:9], v[162:163], v[12:13]
	v_mul_f64_e32 v[12:13], v[170:171], v[18:19]
	v_fma_f64 v[8:9], v[160:161], v[14:15], -v[8:9]
	s_delay_alu instid0(VALU_DEP_2) | instskip(SKIP_2) | instid1(VALU_DEP_2)
	v_fma_f64 v[14:15], v[168:169], v[16:17], v[12:13]
	v_mul_f64_e32 v[12:13], v[170:171], v[16:17]
	v_mul_f64_e32 v[16:17], v[50:51], v[22:23]
	v_fma_f64 v[12:13], v[168:169], v[18:19], -v[12:13]
	s_delay_alu instid0(VALU_DEP_2) | instskip(SKIP_1) | instid1(VALU_DEP_1)
	v_fma_f64 v[18:19], v[48:49], v[20:21], v[16:17]
	v_mul_f64_e32 v[16:17], v[50:51], v[20:21]
	v_fma_f64 v[16:17], v[48:49], v[22:23], -v[16:17]
	ds_load_b128 v[48:51], v72 offset:17920
	s_wait_dscnt 0x0
	v_mul_f64_e32 v[20:21], v[54:55], v[50:51]
	s_delay_alu instid0(VALU_DEP_1) | instskip(SKIP_3) | instid1(VALU_DEP_3)
	v_fma_f64 v[22:23], v[52:53], v[48:49], v[20:21]
	v_mul_f64_e32 v[20:21], v[54:55], v[48:49]
	v_add_f64_e32 v[48:49], v[60:61], v[86:87]
	v_add_f64_e32 v[54:55], v[70:71], v[75:76]
	v_fma_f64 v[20:21], v[52:53], v[50:51], -v[20:21]
	v_add_f64_e32 v[50:51], v[68:69], v[73:74]
	s_delay_alu instid0(VALU_DEP_4) | instskip(NEXT) | instid1(VALU_DEP_1)
	v_add_f64_e32 v[52:53], v[90:91], v[48:49]
	v_add_f64_e32 v[92:93], v[50:51], v[52:53]
	;; [unrolled: 1-line block ×3, first 2 shown]
	s_delay_alu instid0(VALU_DEP_1) | instskip(NEXT) | instid1(VALU_DEP_1)
	v_add_f64_e32 v[56:57], v[94:95], v[52:53]
	v_add_f64_e32 v[96:97], v[54:55], v[56:57]
	ds_load_b128 v[56:59], v72
	s_wait_dscnt 0x0
	v_add_f64_e32 v[80:81], v[56:57], v[92:93]
	v_add_f64_e64 v[56:57], v[64:65], -v[77:78]
	v_add_f64_e64 v[64:65], v[73:74], -v[68:69]
	;; [unrolled: 1-line block ×6, first 2 shown]
	v_add_f64_e32 v[82:83], v[58:59], v[96:97]
	v_add_f64_e64 v[58:59], v[66:67], -v[84:85]
	v_add_f64_e64 v[66:67], v[75:76], -v[70:71]
	;; [unrolled: 1-line block ×6, first 2 shown]
	v_fma_f64 v[92:93], v[92:93], s[16:17], v[80:81]
	v_add_f64_e32 v[60:61], v[64:65], v[56:57]
	v_add_f64_e64 v[62:63], v[64:65], -v[56:57]
	v_add_f64_e64 v[86:87], v[56:57], -v[68:69]
	;; [unrolled: 1-line block ×3, first 2 shown]
	v_fma_f64 v[96:97], v[96:97], s[16:17], v[82:83]
	v_add_f64_e32 v[56:57], v[66:67], v[58:59]
	v_add_f64_e64 v[90:91], v[58:59], -v[70:71]
	v_add_f64_e64 v[88:89], v[66:67], -v[58:59]
	;; [unrolled: 1-line block ×3, first 2 shown]
	s_wait_alu 0xfffe
	v_mul_f64_e32 v[58:59], s[0:1], v[84:85]
	v_add_f64_e32 v[94:95], v[60:61], v[68:69]
	v_mul_f64_e32 v[100:101], s[14:15], v[62:63]
	v_mul_f64_e32 v[52:53], s[2:3], v[86:87]
	;; [unrolled: 1-line block ×3, first 2 shown]
	v_add_f64_e32 v[98:99], v[56:57], v[70:71]
	v_mul_f64_e32 v[54:55], s[2:3], v[90:91]
	v_mul_f64_e32 v[70:71], s[20:21], v[50:51]
	;; [unrolled: 1-line block ×4, first 2 shown]
	v_fma_f64 v[58:59], v[77:78], s[12:13], -v[58:59]
	v_fma_f64 v[60:61], v[86:87], s[2:3], -v[100:101]
	;; [unrolled: 1-line block ×4, first 2 shown]
	v_fma_f64 v[64:65], v[64:65], s[18:19], v[100:101]
	v_fma_f64 v[68:69], v[75:76], s[0:1], v[68:69]
	v_fma_f64 v[50:51], v[66:67], s[24:25], -v[54:55]
	v_fma_f64 v[54:55], v[77:78], s[22:23], -v[70:71]
	v_fma_f64 v[66:67], v[66:67], s[18:19], v[88:89]
	v_fma_f64 v[56:57], v[73:74], s[12:13], -v[56:57]
	v_fma_f64 v[70:71], v[84:85], s[0:1], v[70:71]
	v_add_f64_e32 v[104:105], v[58:59], v[96:97]
	v_fma_f64 v[62:63], v[94:95], s[10:11], v[60:61]
	v_fma_f64 v[73:74], v[94:95], s[10:11], v[48:49]
	v_add_f64_e32 v[52:53], v[52:53], v[92:93]
	v_fma_f64 v[60:61], v[90:91], s[2:3], -v[88:89]
	v_add_f64_e32 v[68:69], v[68:69], v[92:93]
	v_fma_f64 v[77:78], v[98:99], s[10:11], v[50:51]
	v_add_f64_e32 v[54:55], v[54:55], v[96:97]
	v_fma_f64 v[75:76], v[98:99], s[10:11], v[66:67]
	v_add_f64_e32 v[102:103], v[56:57], v[92:93]
	v_add_f64_e32 v[70:71], v[70:71], v[96:97]
	;; [unrolled: 1-line block ×3, first 2 shown]
	v_add_f64_e64 v[62:63], v[104:105], -v[62:63]
	v_fma_f64 v[60:61], v[98:99], s[10:11], v[60:61]
	v_add_f64_e32 v[48:49], v[77:78], v[52:53]
	v_add_f64_e64 v[50:51], v[54:55], -v[73:74]
	v_add_f64_e32 v[54:55], v[73:74], v[54:55]
	v_fma_f64 v[73:74], v[94:95], s[10:11], v[64:65]
	v_add_f64_e64 v[52:53], v[52:53], -v[77:78]
	v_add_f64_e32 v[64:65], v[75:76], v[68:69]
	v_add_f64_e64 v[68:69], v[68:69], -v[75:76]
	v_add_f64_e64 v[56:57], v[102:103], -v[60:61]
	v_add_f64_e32 v[60:61], v[60:61], v[102:103]
	v_add_f64_e64 v[66:67], v[70:71], -v[73:74]
	v_add_f64_e32 v[70:71], v[73:74], v[70:71]
	ds_load_b128 v[73:76], v72 offset:1792
	ds_load_b128 v[84:87], v72 offset:896
	global_wb scope:SCOPE_SE
	s_wait_dscnt 0x0
	s_barrier_signal -1
	s_barrier_wait -1
	global_inv scope:SCOPE_SE
	scratch_load_b32 v77, off, off offset:716 th:TH_LOAD_LU ; 4-byte Folded Reload
	s_wait_loadcnt 0x0
	ds_store_b128 v77, v[80:83]
	ds_store_b128 v77, v[64:67] offset:384
	ds_store_b128 v77, v[48:51] offset:768
	;; [unrolled: 1-line block ×6, first 2 shown]
	v_add_f64_e32 v[52:53], v[26:27], v[46:47]
	v_add_f64_e32 v[54:55], v[30:31], v[42:43]
	;; [unrolled: 1-line block ×5, first 2 shown]
	v_add_f64_e64 v[30:31], v[30:31], -v[42:43]
	v_add_f64_e64 v[34:35], v[38:39], -v[34:35]
	v_add_f64_e32 v[64:65], v[32:33], v[36:37]
	v_add_f64_e64 v[38:39], v[26:27], -v[46:47]
	v_add_f64_e64 v[26:27], v[28:29], -v[40:41]
	;; [unrolled: 1-line block ×4, first 2 shown]
	v_add_f64_e32 v[48:49], v[54:55], v[52:53]
	v_add_f64_e64 v[40:41], v[54:55], -v[52:53]
	v_add_f64_e64 v[42:43], v[56:57], -v[54:55]
	;; [unrolled: 1-line block ×7, first 2 shown]
	v_add_f64_e32 v[24:25], v[34:35], v[30:31]
	v_add_f64_e32 v[30:31], v[32:33], v[26:27]
	v_add_f64_e64 v[68:69], v[26:27], -v[36:37]
	v_add_f64_e32 v[58:59], v[56:57], v[48:49]
	v_add_f64_e32 v[48:49], v[62:63], v[60:61]
	v_add_f64_e64 v[56:57], v[60:61], -v[64:65]
	v_add_f64_e64 v[62:63], v[32:33], -v[26:27]
	;; [unrolled: 1-line block ×3, first 2 shown]
	v_mul_f64_e32 v[80:81], s[14:15], v[28:29]
	v_mul_f64_e32 v[52:53], s[20:21], v[52:53]
	;; [unrolled: 1-line block ×3, first 2 shown]
	v_add_f64_e32 v[70:71], v[24:25], v[38:39]
	v_add_f64_e32 v[77:78], v[30:31], v[36:37]
	v_mul_f64_e32 v[34:35], s[2:3], v[68:69]
	v_mul_f64_e32 v[24:25], s[0:1], v[42:43]
	v_add_f64_e32 v[66:67], v[64:65], v[48:49]
	v_add_f64_e32 v[48:49], v[84:85], v[58:59]
	v_add_f64_e64 v[64:65], v[36:37], -v[32:33]
	v_mul_f64_e32 v[32:33], s[2:3], v[54:55]
	v_fma_f64 v[28:29], v[54:55], s[2:3], -v[80:81]
	v_mul_f64_e32 v[54:55], s[20:21], v[56:57]
	v_fma_f64 v[36:37], v[40:41], s[22:23], -v[52:53]
	;; [unrolled: 2-line block ×3, first 2 shown]
	v_fma_f64 v[42:43], v[42:43], s[0:1], v[52:53]
	v_fma_f64 v[24:25], v[40:41], s[12:13], -v[24:25]
	v_add_f64_e32 v[50:51], v[86:87], v[66:67]
	v_fma_f64 v[58:59], v[58:59], s[16:17], v[48:49]
	v_fma_f64 v[34:35], v[64:65], s[24:25], -v[34:35]
	v_fma_f64 v[32:33], v[60:61], s[24:25], -v[32:33]
	v_fma_f64 v[30:31], v[70:71], s[10:11], v[28:29]
	v_fma_f64 v[38:39], v[44:45], s[22:23], -v[54:55]
	v_fma_f64 v[46:47], v[46:47], s[0:1], v[54:55]
	;; [unrolled: 2-line block ×3, first 2 shown]
	v_add_f64_e32 v[36:37], v[36:37], v[58:59]
	v_fma_f64 v[44:45], v[77:78], s[10:11], v[34:35]
	v_fma_f64 v[40:41], v[70:71], s[10:11], v[32:33]
	v_add_f64_e32 v[54:55], v[42:43], v[58:59]
	v_add_f64_e32 v[82:83], v[24:25], v[58:59]
	v_fma_f64 v[28:29], v[77:78], s[10:11], v[28:29]
	v_add_f64_e32 v[38:39], v[38:39], v[66:67]
	v_add_f64_e32 v[46:47], v[46:47], v[66:67]
	;; [unrolled: 1-line block ×3, first 2 shown]
	v_add_f64_e64 v[36:37], v[36:37], -v[44:45]
	v_fma_f64 v[44:45], v[64:65], s[18:19], v[62:63]
	v_add_f64_e32 v[84:85], v[26:27], v[66:67]
	v_add_f64_e64 v[24:25], v[82:83], -v[28:29]
	v_add_f64_e32 v[28:29], v[28:29], v[82:83]
	v_add_f64_e64 v[34:35], v[38:39], -v[40:41]
	v_add_f64_e32 v[38:39], v[40:41], v[38:39]
	v_fma_f64 v[40:41], v[60:61], s[18:19], v[80:81]
	v_fma_f64 v[44:45], v[77:78], s[10:11], v[44:45]
	v_add_f64_e32 v[26:27], v[30:31], v[84:85]
	v_add_f64_e64 v[30:31], v[84:85], -v[30:31]
	s_delay_alu instid0(VALU_DEP_4) | instskip(NEXT) | instid1(VALU_DEP_4)
	v_fma_f64 v[52:53], v[70:71], s[10:11], v[40:41]
	v_add_f64_e32 v[40:41], v[44:45], v[54:55]
	v_add_f64_e64 v[44:45], v[54:55], -v[44:45]
	s_delay_alu instid0(VALU_DEP_3)
	v_add_f64_e64 v[42:43], v[46:47], -v[52:53]
	v_add_f64_e32 v[46:47], v[52:53], v[46:47]
	ds_store_b128 v146, v[48:51]
	ds_store_b128 v146, v[40:43] offset:384
	ds_store_b128 v146, v[32:35] offset:768
	;; [unrolled: 1-line block ×6, first 2 shown]
	v_add_f64_e32 v[28:29], v[2:3], v[22:23]
	v_add_f64_e32 v[30:31], v[6:7], v[18:19]
	v_add_f64_e32 v[32:33], v[10:11], v[14:15]
	v_add_f64_e32 v[36:37], v[0:1], v[20:21]
	v_add_f64_e32 v[38:39], v[4:5], v[16:17]
	v_add_f64_e64 v[6:7], v[6:7], -v[18:19]
	v_add_f64_e64 v[10:11], v[14:15], -v[10:11]
	v_add_f64_e32 v[40:41], v[8:9], v[12:13]
	v_add_f64_e64 v[14:15], v[2:3], -v[22:23]
	v_add_f64_e64 v[2:3], v[4:5], -v[16:17]
	;; [unrolled: 1-line block ×4, first 2 shown]
	v_add_f64_e32 v[24:25], v[30:31], v[28:29]
	v_add_f64_e64 v[16:17], v[30:31], -v[28:29]
	v_add_f64_e64 v[18:19], v[32:33], -v[30:31]
	;; [unrolled: 1-line block ×5, first 2 shown]
	v_add_f64_e32 v[0:1], v[10:11], v[6:7]
	v_add_f64_e64 v[30:31], v[6:7], -v[14:15]
	v_add_f64_e64 v[22:23], v[40:41], -v[38:39]
	v_add_f64_e32 v[6:7], v[8:9], v[2:3]
	v_add_f64_e64 v[44:45], v[2:3], -v[12:13]
	v_add_f64_e32 v[34:35], v[32:33], v[24:25]
	v_add_f64_e32 v[24:25], v[38:39], v[36:37]
	v_add_f64_e64 v[32:33], v[36:37], -v[40:41]
	v_add_f64_e64 v[38:39], v[8:9], -v[2:3]
	;; [unrolled: 1-line block ×3, first 2 shown]
	v_mul_f64_e32 v[50:51], s[14:15], v[4:5]
	v_mul_f64_e32 v[28:29], s[20:21], v[28:29]
	v_add_f64_e32 v[46:47], v[0:1], v[14:15]
	v_mul_f64_e32 v[0:1], s[0:1], v[18:19]
	v_add_f64_e32 v[48:49], v[6:7], v[12:13]
	v_mul_f64_e32 v[10:11], s[2:3], v[44:45]
	v_mul_f64_e32 v[2:3], s[0:1], v[22:23]
	v_add_f64_e32 v[42:43], v[40:41], v[24:25]
	v_add_f64_e32 v[24:25], v[73:74], v[34:35]
	v_add_f64_e64 v[40:41], v[12:13], -v[8:9]
	v_mul_f64_e32 v[8:9], s[2:3], v[30:31]
	v_fma_f64 v[6:7], v[30:31], s[2:3], -v[50:51]
	v_mul_f64_e32 v[30:31], s[20:21], v[32:33]
	v_fma_f64 v[12:13], v[16:17], s[22:23], -v[28:29]
	;; [unrolled: 2-line block ×3, first 2 shown]
	v_fma_f64 v[2:3], v[20:21], s[12:13], -v[2:3]
	v_add_f64_e32 v[26:27], v[75:76], v[42:43]
	v_fma_f64 v[34:35], v[34:35], s[16:17], v[24:25]
	v_fma_f64 v[10:11], v[40:41], s[24:25], -v[10:11]
	v_fma_f64 v[8:9], v[36:37], s[24:25], -v[8:9]
	v_fma_f64 v[6:7], v[46:47], s[10:11], v[6:7]
	v_fma_f64 v[14:15], v[20:21], s[22:23], -v[30:31]
	v_fma_f64 v[4:5], v[44:45], s[2:3], -v[38:39]
	v_fma_f64 v[42:43], v[42:43], s[16:17], v[26:27]
	v_add_f64_e32 v[12:13], v[12:13], v[34:35]
	v_fma_f64 v[20:21], v[48:49], s[10:11], v[10:11]
	v_fma_f64 v[16:17], v[46:47], s[10:11], v[8:9]
	v_add_f64_e32 v[52:53], v[0:1], v[34:35]
	v_fma_f64 v[4:5], v[48:49], s[10:11], v[4:5]
	v_add_f64_e32 v[14:15], v[14:15], v[42:43]
	v_add_f64_e32 v[54:55], v[2:3], v[42:43]
	;; [unrolled: 1-line block ×3, first 2 shown]
	v_add_f64_e64 v[12:13], v[12:13], -v[20:21]
	v_fma_f64 v[20:21], v[40:41], s[18:19], v[38:39]
	v_add_f64_e64 v[0:1], v[52:53], -v[4:5]
	v_add_f64_e32 v[4:5], v[4:5], v[52:53]
	v_add_f64_e64 v[10:11], v[14:15], -v[16:17]
	v_add_f64_e32 v[14:15], v[16:17], v[14:15]
	v_fma_f64 v[16:17], v[18:19], s[0:1], v[28:29]
	v_fma_f64 v[18:19], v[22:23], s[0:1], v[30:31]
	;; [unrolled: 1-line block ×4, first 2 shown]
	v_add_f64_e32 v[2:3], v[6:7], v[54:55]
	v_add_f64_e64 v[6:7], v[54:55], -v[6:7]
	v_add_f64_e32 v[28:29], v[16:17], v[34:35]
	v_add_f64_e32 v[30:31], v[18:19], v[42:43]
	v_fma_f64 v[22:23], v[46:47], s[10:11], v[22:23]
	s_delay_alu instid0(VALU_DEP_3) | instskip(SKIP_1) | instid1(VALU_DEP_3)
	v_add_f64_e32 v[16:17], v[20:21], v[28:29]
	v_add_f64_e64 v[20:21], v[28:29], -v[20:21]
	v_add_f64_e64 v[18:19], v[30:31], -v[22:23]
	v_add_f64_e32 v[22:23], v[22:23], v[30:31]
	ds_store_b128 v79, v[24:27]
	ds_store_b128 v79, v[16:19] offset:384
	ds_store_b128 v79, v[8:11] offset:768
	;; [unrolled: 1-line block ×6, first 2 shown]
	global_wb scope:SCOPE_SE
	s_wait_dscnt 0x0
	s_barrier_signal -1
	s_barrier_wait -1
	global_inv scope:SCOPE_SE
	scratch_load_b128 v[6:9], off, off offset:672 th:TH_LOAD_LU ; 16-byte Folded Reload
	ds_load_b128 v[0:3], v72 offset:2688
	ds_load_b128 v[52:55], v72 offset:11648
	;; [unrolled: 1-line block ×4, first 2 shown]
	s_wait_loadcnt_dscnt 0x3
	v_mul_f64_e32 v[4:5], v[8:9], v[2:3]
	s_delay_alu instid0(VALU_DEP_1)
	v_fma_f64 v[40:41], v[6:7], v[0:1], v[4:5]
	v_mul_f64_e32 v[0:1], v[8:9], v[0:1]
	ds_load_b128 v[8:11], v72 offset:7168
	v_fma_f64 v[42:43], v[6:7], v[2:3], -v[0:1]
	ds_load_b128 v[0:3], v72 offset:5376
	s_wait_dscnt 0x0
	v_mul_f64_e32 v[4:5], v[226:227], v[2:3]
	s_delay_alu instid0(VALU_DEP_1) | instskip(SKIP_1) | instid1(VALU_DEP_1)
	v_fma_f64 v[44:45], v[224:225], v[0:1], v[4:5]
	v_mul_f64_e32 v[0:1], v[226:227], v[0:1]
	v_fma_f64 v[46:47], v[224:225], v[2:3], -v[0:1]
	ds_load_b128 v[0:3], v72 offset:8064
	s_wait_dscnt 0x0
	v_mul_f64_e32 v[4:5], v[230:231], v[2:3]
	s_delay_alu instid0(VALU_DEP_1) | instskip(SKIP_1) | instid1(VALU_DEP_1)
	v_fma_f64 v[50:51], v[228:229], v[0:1], v[4:5]
	v_mul_f64_e32 v[0:1], v[230:231], v[0:1]
	v_fma_f64 v[48:49], v[228:229], v[2:3], -v[0:1]
	ds_load_b128 v[0:3], v72 offset:13440
	s_wait_dscnt 0x0
	v_mul_f64_e32 v[4:5], v[210:211], v[2:3]
	s_delay_alu instid0(VALU_DEP_1) | instskip(SKIP_1) | instid1(VALU_DEP_2)
	v_fma_f64 v[64:65], v[208:209], v[0:1], v[4:5]
	v_mul_f64_e32 v[0:1], v[210:211], v[0:1]
	v_add_f64_e32 v[87:88], v[44:45], v[64:65]
	s_delay_alu instid0(VALU_DEP_2)
	v_fma_f64 v[66:67], v[208:209], v[2:3], -v[0:1]
	ds_load_b128 v[0:3], v72 offset:16128
	v_add_f64_e64 v[44:45], v[44:45], -v[64:65]
	s_wait_dscnt 0x0
	v_mul_f64_e32 v[4:5], v[198:199], v[2:3]
	v_add_f64_e32 v[95:96], v[46:47], v[66:67]
	v_add_f64_e64 v[46:47], v[46:47], -v[66:67]
	s_delay_alu instid0(VALU_DEP_3) | instskip(SKIP_1) | instid1(VALU_DEP_2)
	v_fma_f64 v[68:69], v[196:197], v[0:1], v[4:5]
	v_mul_f64_e32 v[0:1], v[198:199], v[0:1]
	v_add_f64_e32 v[85:86], v[40:41], v[68:69]
	s_delay_alu instid0(VALU_DEP_2)
	v_fma_f64 v[70:71], v[196:197], v[2:3], -v[0:1]
	ds_load_b128 v[0:3], v72 offset:3584
	v_add_f64_e64 v[64:65], v[40:41], -v[68:69]
	s_wait_dscnt 0x0
	v_mul_f64_e32 v[4:5], v[202:203], v[2:3]
	v_add_f64_e64 v[68:69], v[87:88], -v[85:86]
	v_add_f64_e32 v[93:94], v[42:43], v[70:71]
	v_add_f64_e64 v[66:67], v[42:43], -v[70:71]
	s_delay_alu instid0(VALU_DEP_4) | instskip(SKIP_1) | instid1(VALU_DEP_3)
	v_fma_f64 v[16:17], v[200:201], v[0:1], v[4:5]
	v_mul_f64_e32 v[0:1], v[202:203], v[0:1]
	v_add_f64_e64 v[133:134], v[46:47], -v[66:67]
	s_delay_alu instid0(VALU_DEP_2) | instskip(SKIP_3) | instid1(VALU_DEP_1)
	v_fma_f64 v[18:19], v[200:201], v[2:3], -v[0:1]
	ds_load_b128 v[0:3], v72 offset:6272
	s_wait_dscnt 0x0
	v_mul_f64_e32 v[4:5], v[194:195], v[2:3]
	v_fma_f64 v[20:21], v[192:193], v[0:1], v[4:5]
	v_mul_f64_e32 v[0:1], v[194:195], v[0:1]
	s_delay_alu instid0(VALU_DEP_1) | instskip(SKIP_3) | instid1(VALU_DEP_1)
	v_fma_f64 v[22:23], v[192:193], v[2:3], -v[0:1]
	ds_load_b128 v[0:3], v72 offset:17024
	s_wait_dscnt 0x0
	v_mul_f64_e32 v[4:5], v[222:223], v[2:3]
	v_fma_f64 v[24:25], v[220:221], v[0:1], v[4:5]
	v_mul_f64_e32 v[0:1], v[222:223], v[0:1]
	s_delay_alu instid0(VALU_DEP_2) | instskip(NEXT) | instid1(VALU_DEP_2)
	v_add_f64_e32 v[101:102], v[16:17], v[24:25]
	v_fma_f64 v[26:27], v[220:221], v[2:3], -v[0:1]
	ds_load_b128 v[0:3], v72 offset:14336
	v_add_f64_e64 v[24:25], v[16:17], -v[24:25]
	s_wait_dscnt 0x0
	v_mul_f64_e32 v[4:5], v[206:207], v[2:3]
	v_add_f64_e32 v[109:110], v[18:19], v[26:27]
	v_add_f64_e64 v[26:27], v[18:19], -v[26:27]
	s_delay_alu instid0(VALU_DEP_3)
	v_fma_f64 v[28:29], v[204:205], v[0:1], v[4:5]
	v_mul_f64_e32 v[0:1], v[206:207], v[0:1]
	ds_load_b128 v[4:7], v72 offset:4480
	v_add_f64_e32 v[103:104], v[20:21], v[28:29]
	v_fma_f64 v[30:31], v[204:205], v[2:3], -v[0:1]
	s_wait_dscnt 0x0
	v_mul_f64_e32 v[0:1], v[218:219], v[6:7]
	v_add_f64_e64 v[20:21], v[20:21], -v[28:29]
	s_delay_alu instid0(VALU_DEP_3) | instskip(NEXT) | instid1(VALU_DEP_3)
	v_add_f64_e32 v[111:112], v[22:23], v[30:31]
	v_fma_f64 v[2:3], v[216:217], v[4:5], v[0:1]
	v_mul_f64_e32 v[0:1], v[218:219], v[4:5]
	v_mul_f64_e32 v[4:5], v[214:215], v[10:11]
	v_add_f64_e64 v[22:23], v[22:23], -v[30:31]
	s_delay_alu instid0(VALU_DEP_3) | instskip(NEXT) | instid1(VALU_DEP_3)
	v_fma_f64 v[0:1], v[216:217], v[6:7], -v[0:1]
	v_fma_f64 v[6:7], v[212:213], v[8:9], v[4:5]
	v_mul_f64_e32 v[4:5], v[214:215], v[8:9]
	v_mul_f64_e32 v[8:9], v[238:239], v[14:15]
	s_delay_alu instid0(VALU_DEP_2) | instskip(NEXT) | instid1(VALU_DEP_2)
	v_fma_f64 v[4:5], v[212:213], v[10:11], -v[4:5]
	v_fma_f64 v[10:11], v[236:237], v[12:13], v[8:9]
	v_mul_f64_e32 v[8:9], v[238:239], v[12:13]
	v_mul_f64_e32 v[12:13], v[234:235], v[34:35]
	s_delay_alu instid0(VALU_DEP_3) | instskip(NEXT) | instid1(VALU_DEP_3)
	v_add_f64_e32 v[117:118], v[2:3], v[10:11]
	v_fma_f64 v[8:9], v[236:237], v[14:15], -v[8:9]
	s_delay_alu instid0(VALU_DEP_3) | instskip(SKIP_2) | instid1(VALU_DEP_4)
	v_fma_f64 v[14:15], v[232:233], v[32:33], v[12:13]
	v_mul_f64_e32 v[12:13], v[234:235], v[32:33]
	v_add_f64_e64 v[10:11], v[2:3], -v[10:11]
	v_add_f64_e32 v[125:126], v[0:1], v[8:9]
	s_delay_alu instid0(VALU_DEP_4) | instskip(NEXT) | instid1(VALU_DEP_4)
	v_add_f64_e32 v[119:120], v[6:7], v[14:15]
	v_fma_f64 v[12:13], v[232:233], v[34:35], -v[12:13]
	ds_load_b128 v[32:35], v72 offset:10752
	v_add_f64_e64 v[6:7], v[6:7], -v[14:15]
	v_add_f64_e64 v[8:9], v[0:1], -v[8:9]
	s_wait_dscnt 0x0
	v_mul_f64_e32 v[36:37], v[182:183], v[34:35]
	v_add_f64_e32 v[60:61], v[119:120], v[117:118]
	v_add_f64_e32 v[127:128], v[4:5], v[12:13]
	v_add_f64_e64 v[2:3], v[4:5], -v[12:13]
	s_delay_alu instid0(VALU_DEP_4)
	v_fma_f64 v[73:74], v[180:181], v[32:33], v[36:37]
	v_mul_f64_e32 v[32:33], v[182:183], v[32:33]
	ds_load_b128 v[36:39], v72 offset:8960
	v_add_f64_e32 v[89:90], v[50:51], v[73:74]
	v_fma_f64 v[75:76], v[180:181], v[34:35], -v[32:33]
	s_wait_dscnt 0x0
	v_mul_f64_e32 v[32:33], v[186:187], v[38:39]
	v_add_f64_e64 v[50:51], v[73:74], -v[50:51]
	v_add_f64_e64 v[73:74], v[95:96], -v[93:94]
	;; [unrolled: 1-line block ×3, first 2 shown]
	v_add_f64_e32 v[97:98], v[48:49], v[75:76]
	v_fma_f64 v[34:35], v[184:185], v[36:37], v[32:33]
	v_mul_f64_e32 v[32:33], v[186:187], v[36:37]
	v_mul_f64_e32 v[36:37], v[190:191], v[54:55]
	v_add_f64_e64 v[42:43], v[50:51], -v[44:45]
	v_add_f64_e64 v[48:49], v[75:76], -v[48:49]
	v_add_f64_e32 v[40:41], v[50:51], v[44:45]
	v_add_f64_e64 v[75:76], v[97:98], -v[95:96]
	v_fma_f64 v[32:33], v[184:185], v[38:39], -v[32:33]
	v_fma_f64 v[38:39], v[188:189], v[52:53], v[36:37]
	v_mul_f64_e32 v[36:37], v[190:191], v[52:53]
	v_mul_f64_e32 v[135:136], s[14:15], v[42:43]
	v_add_f64_e32 v[139:140], v[40:41], v[64:65]
	v_mul_f64_e32 v[40:41], s[0:1], v[70:71]
	v_mul_f64_e32 v[42:43], s[0:1], v[75:76]
	v_add_f64_e32 v[105:106], v[34:35], v[38:39]
	v_fma_f64 v[36:37], v[188:189], v[54:55], -v[36:37]
	ds_load_b128 v[52:55], v72 offset:9856
	v_add_f64_e64 v[28:29], v[38:39], -v[34:35]
	v_fma_f64 v[40:41], v[68:69], s[12:13], -v[40:41]
	s_wait_dscnt 0x0
	v_mul_f64_e32 v[56:57], v[174:175], v[54:55]
	v_fma_f64 v[42:43], v[73:74], s[12:13], -v[42:43]
	v_add_f64_e64 v[34:35], v[105:106], -v[103:104]
	v_add_f64_e32 v[113:114], v[32:33], v[36:37]
	v_add_f64_e64 v[30:31], v[36:37], -v[32:33]
	v_add_f64_e32 v[16:17], v[28:29], v[20:21]
	v_add_f64_e64 v[32:33], v[103:104], -v[101:102]
	v_add_f64_e64 v[18:19], v[28:29], -v[20:21]
	;; [unrolled: 1-line block ×3, first 2 shown]
	v_fma_f64 v[77:78], v[172:173], v[52:53], v[56:57]
	v_mul_f64_e32 v[52:53], v[174:175], v[52:53]
	v_add_f64_e64 v[38:39], v[113:114], -v[111:112]
	s_delay_alu instid0(VALU_DEP_2) | instskip(SKIP_3) | instid1(VALU_DEP_1)
	v_fma_f64 v[79:80], v[172:173], v[54:55], -v[52:53]
	ds_load_b128 v[52:55], v72 offset:12544
	s_wait_dscnt 0x0
	v_mul_f64_e32 v[56:57], v[178:179], v[54:55]
	v_fma_f64 v[81:82], v[176:177], v[52:53], v[56:57]
	v_mul_f64_e32 v[52:53], v[178:179], v[52:53]
	v_add_f64_e32 v[56:57], v[103:104], v[101:102]
	v_add_f64_e64 v[101:102], v[101:102], -v[105:106]
	s_delay_alu instid0(VALU_DEP_4) | instskip(NEXT) | instid1(VALU_DEP_4)
	v_add_f64_e32 v[121:122], v[77:78], v[81:82]
	v_fma_f64 v[83:84], v[176:177], v[54:55], -v[52:53]
	v_add_f64_e32 v[52:53], v[87:88], v[85:86]
	v_add_f64_e32 v[107:108], v[105:106], v[56:57]
	;; [unrolled: 1-line block ×3, first 2 shown]
	v_add_f64_e64 v[87:88], v[44:45], -v[64:65]
	v_add_f64_e64 v[85:86], v[85:86], -v[89:90]
	;; [unrolled: 1-line block ×4, first 2 shown]
	v_mul_f64_e32 v[101:102], s[20:21], v[101:102]
	v_add_f64_e64 v[14:15], v[81:82], -v[77:78]
	v_add_f64_e64 v[77:78], v[119:120], -v[117:118]
	;; [unrolled: 1-line block ×3, first 2 shown]
	v_add_f64_e32 v[123:124], v[121:122], v[60:61]
	v_add_f64_e32 v[129:130], v[79:80], v[83:84]
	;; [unrolled: 1-line block ×4, first 2 shown]
	v_add_f64_e64 v[89:90], v[93:94], -v[97:98]
	v_add_f64_e32 v[115:116], v[113:114], v[56:57]
	ds_load_b128 v[56:59], v72 offset:896
	v_add_f64_e32 v[95:96], v[48:49], v[46:47]
	v_fma_f64 v[46:47], v[87:88], s[2:3], -v[135:136]
	v_add_f64_e64 v[93:94], v[64:65], -v[50:51]
	v_mul_f64_e32 v[50:51], s[2:3], v[87:88]
	v_mul_f64_e32 v[85:86], s[20:21], v[85:86]
	;; [unrolled: 1-line block ×3, first 2 shown]
	v_add_f64_e32 v[60:61], v[127:128], v[125:126]
	v_add_f64_e64 v[12:13], v[83:84], -v[79:80]
	v_add_f64_e64 v[4:5], v[14:15], -v[6:7]
	;; [unrolled: 1-line block ×3, first 2 shown]
	v_add_f64_e32 v[0:1], v[14:15], v[6:7]
	s_wait_dscnt 0x0
	v_add_f64_e32 v[56:57], v[56:57], v[107:108]
	v_add_f64_e64 v[83:84], v[129:130], -v[127:128]
	v_add_f64_e32 v[99:100], v[97:98], v[52:53]
	ds_load_b128 v[52:55], v72
	v_mul_f64_e32 v[87:88], s[20:21], v[89:90]
	v_add_f64_e64 v[97:98], v[66:67], -v[48:49]
	v_add_f64_e32 v[95:96], v[95:96], v[66:67]
	v_mul_f64_e32 v[48:49], s[2:3], v[133:134]
	v_add_f64_e64 v[89:90], v[22:23], -v[26:27]
	v_fma_f64 v[50:51], v[93:94], s[24:25], -v[50:51]
	v_fma_f64 v[64:65], v[68:69], s[22:23], -v[85:86]
	v_fma_f64 v[70:71], v[70:71], s[0:1], v[85:86]
	v_fma_f64 v[44:45], v[133:134], s[2:3], -v[137:138]
	v_add_f64_e32 v[58:59], v[58:59], v[115:116]
	v_add_f64_e32 v[131:132], v[129:130], v[60:61]
	ds_load_b128 v[60:63], v72 offset:1792
	v_fma_f64 v[46:47], v[139:140], s[10:11], v[46:47]
	s_wait_dscnt 0x1
	v_add_f64_e32 v[52:53], v[52:53], v[91:92]
	s_wait_dscnt 0x0
	v_add_f64_e32 v[60:61], v[60:61], v[123:124]
	v_add_f64_e32 v[54:55], v[54:55], v[99:100]
	v_fma_f64 v[66:67], v[73:74], s[22:23], -v[87:88]
	v_fma_f64 v[75:76], v[75:76], s[0:1], v[87:88]
	v_fma_f64 v[48:49], v[97:98], s[24:25], -v[48:49]
	v_fma_f64 v[73:74], v[139:140], s[10:11], v[50:51]
	v_fma_f64 v[44:45], v[95:96], s[10:11], v[44:45]
	v_add_f64_e32 v[62:63], v[62:63], v[131:132]
	v_fma_f64 v[91:92], v[91:92], s[16:17], v[52:53]
	v_fma_f64 v[99:100], v[99:100], s[16:17], v[54:55]
	;; [unrolled: 1-line block ×3, first 2 shown]
	s_delay_alu instid0(VALU_DEP_3) | instskip(SKIP_1) | instid1(VALU_DEP_4)
	v_add_f64_e32 v[64:65], v[64:65], v[91:92]
	v_add_f64_e32 v[141:142], v[40:41], v[91:92]
	;; [unrolled: 1-line block ×5, first 2 shown]
	v_fma_f64 v[99:100], v[115:116], s[16:17], v[58:59]
	v_add_f64_e32 v[48:49], v[68:69], v[64:65]
	v_add_f64_e64 v[64:65], v[64:65], -v[68:69]
	v_fma_f64 v[68:69], v[97:98], s[18:19], v[137:138]
	v_fma_f64 v[97:98], v[107:108], s[16:17], v[56:57]
	v_add_f64_e64 v[40:41], v[141:142], -v[44:45]
	v_add_f64_e32 v[44:45], v[44:45], v[141:142]
	v_add_f64_e64 v[50:51], v[66:67], -v[73:74]
	v_add_f64_e32 v[66:67], v[73:74], v[66:67]
	v_fma_f64 v[73:74], v[93:94], s[18:19], v[135:136]
	v_add_f64_e32 v[42:43], v[46:47], v[143:144]
	v_add_f64_e64 v[46:47], v[143:144], -v[46:47]
	v_fma_f64 v[85:86], v[95:96], s[10:11], v[68:69]
	v_mul_f64_e32 v[95:96], s[14:15], v[18:19]
	v_mul_f64_e32 v[18:19], s[0:1], v[38:39]
	v_fma_f64 v[87:88], v[139:140], s[10:11], v[73:74]
	v_add_f64_e32 v[73:74], v[70:71], v[91:92]
	v_add_f64_e32 v[91:92], v[16:17], v[24:25]
	v_mul_f64_e32 v[16:17], s[0:1], v[34:35]
	v_fma_f64 v[18:19], v[36:37], s[12:13], -v[18:19]
	v_add_f64_e64 v[70:71], v[75:76], -v[87:88]
	v_add_f64_e32 v[75:76], v[87:88], v[75:76]
	v_add_f64_e64 v[87:88], v[30:31], -v[22:23]
	v_add_f64_e32 v[68:69], v[85:86], v[73:74]
	v_add_f64_e64 v[73:74], v[73:74], -v[85:86]
	v_add_f64_e64 v[85:86], v[20:21], -v[24:25]
	v_add_f64_e32 v[20:21], v[30:31], v[22:23]
	v_fma_f64 v[16:17], v[32:33], s[12:13], -v[16:17]
	v_fma_f64 v[32:33], v[32:33], s[22:23], -v[101:102]
	v_add_f64_e32 v[107:108], v[18:19], v[99:100]
	v_mul_f64_e32 v[87:88], s[14:15], v[87:88]
	v_fma_f64 v[22:23], v[85:86], s[2:3], -v[95:96]
	v_add_f64_e32 v[93:94], v[20:21], v[26:27]
	v_add_f64_e32 v[103:104], v[16:17], v[97:98]
	s_delay_alu instid0(VALU_DEP_4) | instskip(NEXT) | instid1(VALU_DEP_4)
	v_fma_f64 v[20:21], v[89:90], s[2:3], -v[87:88]
	v_fma_f64 v[22:23], v[91:92], s[10:11], v[22:23]
	s_delay_alu instid0(VALU_DEP_2) | instskip(NEXT) | instid1(VALU_DEP_2)
	v_fma_f64 v[20:21], v[93:94], s[10:11], v[20:21]
	v_add_f64_e32 v[18:19], v[22:23], v[107:108]
	v_add_f64_e64 v[22:23], v[107:108], -v[22:23]
	v_add_f64_e64 v[107:108], v[24:25], -v[28:29]
	v_fma_f64 v[24:25], v[105:106], s[18:19], v[87:88]
	v_fma_f64 v[28:29], v[34:35], s[0:1], v[101:102]
	v_add_f64_e32 v[87:88], v[32:33], v[97:98]
	v_add_f64_e64 v[16:17], v[103:104], -v[20:21]
	v_add_f64_e32 v[20:21], v[20:21], v[103:104]
	v_add_f64_e64 v[103:104], v[109:110], -v[113:114]
	v_fma_f64 v[26:27], v[107:108], s[18:19], v[95:96]
	v_fma_f64 v[34:35], v[93:94], s[10:11], v[24:25]
	v_add_f64_e32 v[28:29], v[28:29], v[97:98]
	v_mul_f64_e32 v[95:96], s[14:15], v[4:5]
	v_fma_f64 v[97:98], v[123:124], s[16:17], v[60:61]
	v_mul_f64_e32 v[103:104], s[20:21], v[103:104]
	s_delay_alu instid0(VALU_DEP_4) | instskip(SKIP_2) | instid1(VALU_DEP_4)
	v_add_f64_e32 v[24:25], v[34:35], v[28:29]
	v_add_f64_e64 v[28:29], v[28:29], -v[34:35]
	v_mul_f64_e32 v[34:35], s[2:3], v[89:90]
	v_fma_f64 v[30:31], v[38:39], s[0:1], v[103:104]
	v_fma_f64 v[38:39], v[91:92], s[10:11], v[26:27]
	v_fma_f64 v[36:37], v[36:37], s[22:23], -v[103:104]
	s_delay_alu instid0(VALU_DEP_4) | instskip(SKIP_2) | instid1(VALU_DEP_4)
	v_fma_f64 v[34:35], v[105:106], s[24:25], -v[34:35]
	v_add_f64_e64 v[105:106], v[10:11], -v[14:15]
	v_add_f64_e32 v[30:31], v[30:31], v[99:100]
	v_add_f64_e32 v[89:90], v[36:37], v[99:100]
	v_fma_f64 v[99:100], v[131:132], s[16:17], v[62:63]
	s_delay_alu instid0(VALU_DEP_3) | instskip(SKIP_3) | instid1(VALU_DEP_2)
	v_add_f64_e64 v[26:27], v[30:31], -v[38:39]
	v_add_f64_e32 v[30:31], v[38:39], v[30:31]
	v_mul_f64_e32 v[38:39], s[2:3], v[85:86]
	v_fma_f64 v[85:86], v[93:94], s[10:11], v[34:35]
	v_fma_f64 v[38:39], v[107:108], s[24:25], -v[38:39]
	s_delay_alu instid0(VALU_DEP_2)
	v_add_f64_e32 v[32:33], v[85:86], v[87:88]
	v_add_f64_e64 v[36:37], v[87:88], -v[85:86]
	v_add_f64_e64 v[85:86], v[6:7], -v[10:11]
	;; [unrolled: 1-line block ×3, first 2 shown]
	v_add_f64_e32 v[6:7], v[12:13], v[2:3]
	v_add_f64_e64 v[107:108], v[8:9], -v[12:13]
	v_fma_f64 v[38:39], v[91:92], s[10:11], v[38:39]
	v_add_f64_e32 v[91:92], v[0:1], v[10:11]
	v_mul_f64_e32 v[0:1], s[0:1], v[79:80]
	v_fma_f64 v[4:5], v[85:86], s[2:3], -v[95:96]
	v_mul_f64_e32 v[87:88], s[14:15], v[87:88]
	v_add_f64_e32 v[93:94], v[6:7], v[8:9]
	v_mul_f64_e32 v[10:11], s[2:3], v[85:86]
	v_add_f64_e64 v[34:35], v[89:90], -v[38:39]
	v_add_f64_e32 v[38:39], v[38:39], v[89:90]
	v_add_f64_e64 v[89:90], v[2:3], -v[8:9]
	v_mul_f64_e32 v[2:3], s[0:1], v[83:84]
	v_fma_f64 v[0:1], v[77:78], s[12:13], -v[0:1]
	v_fma_f64 v[6:7], v[91:92], s[10:11], v[4:5]
	v_fma_f64 v[10:11], v[105:106], s[24:25], -v[10:11]
	v_fma_f64 v[4:5], v[89:90], s[2:3], -v[87:88]
	;; [unrolled: 1-line block ×3, first 2 shown]
	v_add_f64_e32 v[101:102], v[0:1], v[97:98]
	v_mul_f64_e32 v[8:9], s[2:3], v[89:90]
	s_mov_b32 s2, 0x899406f7
	s_mov_b32 s3, 0x3f4bdd2b
	s_delay_alu instid0(VALU_DEP_4) | instskip(NEXT) | instid1(VALU_DEP_4)
	v_fma_f64 v[4:5], v[93:94], s[10:11], v[4:5]
	v_add_f64_e32 v[103:104], v[2:3], v[99:100]
	s_delay_alu instid0(VALU_DEP_3) | instskip(NEXT) | instid1(VALU_DEP_3)
	v_fma_f64 v[8:9], v[107:108], s[24:25], -v[8:9]
	v_add_f64_e64 v[0:1], v[101:102], -v[4:5]
	s_delay_alu instid0(VALU_DEP_3) | instskip(SKIP_4) | instid1(VALU_DEP_2)
	v_add_f64_e32 v[2:3], v[6:7], v[103:104]
	v_add_f64_e32 v[4:5], v[4:5], v[101:102]
	v_add_f64_e64 v[6:7], v[103:104], -v[6:7]
	v_add_f64_e64 v[101:102], v[117:118], -v[121:122]
	;; [unrolled: 1-line block ×3, first 2 shown]
	v_mul_f64_e32 v[101:102], s[20:21], v[101:102]
	s_delay_alu instid0(VALU_DEP_2) | instskip(NEXT) | instid1(VALU_DEP_2)
	v_mul_f64_e32 v[103:104], s[20:21], v[103:104]
	v_fma_f64 v[12:13], v[77:78], s[22:23], -v[101:102]
	s_delay_alu instid0(VALU_DEP_2) | instskip(SKIP_2) | instid1(VALU_DEP_4)
	v_fma_f64 v[14:15], v[81:82], s[22:23], -v[103:104]
	v_fma_f64 v[77:78], v[93:94], s[10:11], v[8:9]
	v_fma_f64 v[81:82], v[91:92], s[10:11], v[10:11]
	v_add_f64_e32 v[12:13], v[12:13], v[97:98]
	s_delay_alu instid0(VALU_DEP_4) | instskip(NEXT) | instid1(VALU_DEP_2)
	v_add_f64_e32 v[14:15], v[14:15], v[99:100]
	v_add_f64_e32 v[8:9], v[77:78], v[12:13]
	s_delay_alu instid0(VALU_DEP_2)
	v_add_f64_e64 v[10:11], v[14:15], -v[81:82]
	v_add_f64_e64 v[12:13], v[12:13], -v[77:78]
	v_add_f64_e32 v[14:15], v[81:82], v[14:15]
	v_fma_f64 v[77:78], v[79:80], s[0:1], v[101:102]
	v_fma_f64 v[79:80], v[83:84], s[0:1], v[103:104]
	;; [unrolled: 1-line block ×4, first 2 shown]
	s_delay_alu instid0(VALU_DEP_4) | instskip(NEXT) | instid1(VALU_DEP_4)
	v_add_f64_e32 v[85:86], v[77:78], v[97:98]
	v_add_f64_e32 v[87:88], v[79:80], v[99:100]
	s_delay_alu instid0(VALU_DEP_4) | instskip(NEXT) | instid1(VALU_DEP_4)
	v_fma_f64 v[81:82], v[93:94], s[10:11], v[81:82]
	v_fma_f64 v[83:84], v[91:92], s[10:11], v[83:84]
	s_delay_alu instid0(VALU_DEP_2) | instskip(NEXT) | instid1(VALU_DEP_2)
	v_add_f64_e32 v[77:78], v[81:82], v[85:86]
	v_add_f64_e64 v[79:80], v[87:88], -v[83:84]
	v_add_f64_e64 v[81:82], v[85:86], -v[81:82]
	v_add_f64_e32 v[83:84], v[83:84], v[87:88]
	ds_store_b128 v72, v[52:55]
	ds_store_b128 v72, v[56:59] offset:896
	ds_store_b128 v72, v[48:51] offset:5376
	;; [unrolled: 1-line block ×20, first 2 shown]
	global_wb scope:SCOPE_SE
	s_wait_dscnt 0x0
	s_barrier_signal -1
	s_barrier_wait -1
	global_inv scope:SCOPE_SE
	s_clause 0x3
	scratch_load_b128 v[6:9], off, off offset:344 th:TH_LOAD_LU
	scratch_load_b128 v[10:13], off, off offset:328 th:TH_LOAD_LU
	scratch_load_b128 v[14:17], off, off offset:312 th:TH_LOAD_LU
	scratch_load_b128 v[18:21], off, off offset:296 th:TH_LOAD_LU
	ds_load_b128 v[0:3], v72
	s_clause 0xe
	scratch_load_b128 v[22:25], off, off offset:280 th:TH_LOAD_LU
	scratch_load_b128 v[26:29], off, off offset:264 th:TH_LOAD_LU
	;; [unrolled: 1-line block ×15, first 2 shown]
	s_wait_loadcnt_dscnt 0x1200
	v_mul_f64_e32 v[4:5], v[8:9], v[2:3]
	s_delay_alu instid0(VALU_DEP_1) | instskip(SKIP_1) | instid1(VALU_DEP_1)
	v_fma_f64 v[4:5], v[6:7], v[0:1], v[4:5]
	v_mul_f64_e32 v[0:1], v[8:9], v[0:1]
	v_fma_f64 v[6:7], v[6:7], v[2:3], -v[0:1]
	ds_load_b128 v[0:3], v72 offset:9408
	s_wait_loadcnt_dscnt 0x1100
	v_mul_f64_e32 v[8:9], v[12:13], v[2:3]
	s_delay_alu instid0(VALU_DEP_1) | instskip(SKIP_1) | instid1(VALU_DEP_1)
	v_fma_f64 v[8:9], v[10:11], v[0:1], v[8:9]
	v_mul_f64_e32 v[0:1], v[12:13], v[0:1]
	v_fma_f64 v[10:11], v[10:11], v[2:3], -v[0:1]
	ds_load_b128 v[0:3], v72 offset:896
	;; [unrolled: 7-line block ×14, first 2 shown]
	s_wait_dscnt 0x0
	v_mul_f64_e32 v[60:61], v[64:65], v[2:3]
	s_delay_alu instid0(VALU_DEP_1) | instskip(SKIP_1) | instid1(VALU_DEP_1)
	v_fma_f64 v[60:61], v[62:63], v[0:1], v[60:61]
	v_mul_f64_e32 v[0:1], v[64:65], v[0:1]
	v_fma_f64 v[62:63], v[62:63], v[2:3], -v[0:1]
	ds_load_b128 v[0:3], v72 offset:15680
	s_wait_dscnt 0x0
	v_mul_f64_e32 v[64:65], v[68:69], v[2:3]
	s_delay_alu instid0(VALU_DEP_1) | instskip(SKIP_1) | instid1(VALU_DEP_1)
	v_fma_f64 v[64:65], v[66:67], v[0:1], v[64:65]
	v_mul_f64_e32 v[0:1], v[68:69], v[0:1]
	v_fma_f64 v[66:67], v[66:67], v[2:3], -v[0:1]
	ds_load_b128 v[0:3], v72 offset:7168
	s_wait_dscnt 0x0
	v_mul_f64_e32 v[68:69], v[75:76], v[2:3]
	s_delay_alu instid0(VALU_DEP_1)
	v_fma_f64 v[68:69], v[73:74], v[0:1], v[68:69]
	v_mul_f64_e32 v[0:1], v[75:76], v[0:1]
	scratch_load_b128 v[75:78], off, off offset:72 th:TH_LOAD_LU ; 16-byte Folded Reload
	v_fma_f64 v[70:71], v[73:74], v[2:3], -v[0:1]
	ds_load_b128 v[0:3], v72 offset:16576
	s_wait_loadcnt_dscnt 0x0
	v_mul_f64_e32 v[73:74], v[77:78], v[2:3]
	s_delay_alu instid0(VALU_DEP_1) | instskip(SKIP_1) | instid1(VALU_DEP_1)
	v_fma_f64 v[73:74], v[75:76], v[0:1], v[73:74]
	v_mul_f64_e32 v[0:1], v[77:78], v[0:1]
	v_fma_f64 v[75:76], v[75:76], v[2:3], -v[0:1]
	ds_load_b128 v[0:3], v72 offset:8064
	s_wait_dscnt 0x0
	v_mul_f64_e32 v[77:78], v[81:82], v[2:3]
	s_delay_alu instid0(VALU_DEP_1) | instskip(SKIP_1) | instid1(VALU_DEP_1)
	v_fma_f64 v[77:78], v[79:80], v[0:1], v[77:78]
	v_mul_f64_e32 v[0:1], v[81:82], v[0:1]
	v_fma_f64 v[79:80], v[79:80], v[2:3], -v[0:1]
	ds_load_b128 v[0:3], v72 offset:17472
	s_wait_dscnt 0x0
	v_mul_f64_e32 v[81:82], v[85:86], v[2:3]
	s_delay_alu instid0(VALU_DEP_1) | instskip(SKIP_1) | instid1(VALU_DEP_1)
	v_fma_f64 v[81:82], v[83:84], v[0:1], v[81:82]
	v_mul_f64_e32 v[0:1], v[85:86], v[0:1]
	v_fma_f64 v[83:84], v[83:84], v[2:3], -v[0:1]
	scratch_load_b64 v[0:1], off, off offset:28 th:TH_LOAD_LU ; 8-byte Folded Reload
	s_wait_alu 0xfffe
	v_mul_f64_e32 v[2:3], s[2:3], v[6:7]
	s_wait_loadcnt 0x0
	v_mov_b32_e32 v1, v0
	s_delay_alu instid0(VALU_DEP_1) | instskip(NEXT) | instid1(VALU_DEP_1)
	v_mad_co_u64_u32 v[85:86], null, s6, v1, 0
	v_mov_b32_e32 v0, v86
	s_delay_alu instid0(VALU_DEP_1) | instskip(NEXT) | instid1(VALU_DEP_1)
	v_mad_co_u64_u32 v[0:1], null, s7, v1, v[0:1]
	v_mov_b32_e32 v86, v0
	v_mul_f64_e32 v[0:1], s[2:3], v[4:5]
	v_mad_co_u64_u32 v[4:5], null, s4, v145, 0
	s_delay_alu instid0(VALU_DEP_1) | instskip(NEXT) | instid1(VALU_DEP_4)
	v_mad_co_u64_u32 v[5:6], null, s5, v145, v[5:6]
	v_lshlrev_b64_e32 v[6:7], 4, v[85:86]
	s_delay_alu instid0(VALU_DEP_2) | instskip(NEXT) | instid1(VALU_DEP_2)
	v_lshlrev_b64_e32 v[4:5], 4, v[4:5]
	v_add_co_u32 v85, s0, s8, v6
	s_wait_alu 0xf1ff
	s_delay_alu instid0(VALU_DEP_3) | instskip(SKIP_1) | instid1(VALU_DEP_3)
	v_add_co_ci_u32_e64 v86, s0, s9, v7, s0
	v_mul_f64_e32 v[6:7], s[2:3], v[38:39]
	v_add_co_u32 v4, s0, v85, v4
	s_wait_alu 0xf1ff
	s_delay_alu instid0(VALU_DEP_3)
	v_add_co_ci_u32_e64 v5, s0, v86, v5, s0
	s_mul_u64 s[0:1], s[4:5], 0x24c
	v_mul_f64_e32 v[38:39], s[2:3], v[83:84]
	s_wait_alu 0xfffe
	s_lshl_b64 s[6:7], s[0:1], 4
	global_store_b128 v[4:5], v[0:3], off
	v_mul_f64_e32 v[0:1], s[2:3], v[8:9]
	v_mul_f64_e32 v[2:3], s[2:3], v[10:11]
	s_wait_alu 0xfffe
	v_add_co_u32 v4, s0, v4, s6
	s_wait_alu 0xf1ff
	v_add_co_ci_u32_e64 v5, s0, s7, v5, s0
	s_movk_i32 s0, 0xfdec
	s_mov_b32 s1, -1
	v_mul_f64_e32 v[10:11], s[2:3], v[42:43]
	s_wait_alu 0xfffe
	s_mul_u64 s[0:1], s[4:5], s[0:1]
	s_wait_alu 0xfffe
	s_lshl_b64 s[8:9], s[0:1], 4
	global_store_b128 v[4:5], v[0:3], off
	v_mul_f64_e32 v[0:1], s[2:3], v[12:13]
	v_mul_f64_e32 v[2:3], s[2:3], v[14:15]
	s_wait_alu 0xfffe
	v_add_co_u32 v4, s0, v4, s8
	s_wait_alu 0xf1ff
	v_add_co_ci_u32_e64 v5, s0, s9, v5, s0
	v_mul_f64_e32 v[14:15], s[2:3], v[50:51]
	global_store_b128 v[4:5], v[0:3], off
	v_mul_f64_e32 v[0:1], s[2:3], v[16:17]
	v_mul_f64_e32 v[2:3], s[2:3], v[18:19]
	v_add_co_u32 v4, s0, v4, s6
	s_wait_alu 0xf1ff
	v_add_co_ci_u32_e64 v5, s0, s7, v5, s0
	v_mul_f64_e32 v[16:17], s[2:3], v[52:53]
	v_mul_f64_e32 v[18:19], s[2:3], v[54:55]
	global_store_b128 v[4:5], v[0:3], off
	v_mul_f64_e32 v[0:1], s[2:3], v[20:21]
	v_mul_f64_e32 v[2:3], s[2:3], v[22:23]
	v_add_co_u32 v4, s0, v4, s8
	s_wait_alu 0xf1ff
	v_add_co_ci_u32_e64 v5, s0, s9, v5, s0
	v_mul_f64_e32 v[22:23], s[2:3], v[62:63]
	global_store_b128 v[4:5], v[0:3], off
	v_mul_f64_e32 v[0:1], s[2:3], v[24:25]
	v_mul_f64_e32 v[2:3], s[2:3], v[26:27]
	v_add_co_u32 v4, s0, v4, s6
	s_wait_alu 0xf1ff
	v_add_co_ci_u32_e64 v5, s0, s7, v5, s0
	v_mul_f64_e32 v[24:25], s[2:3], v[64:65]
	s_delay_alu instid0(VALU_DEP_3) | instskip(SKIP_1) | instid1(VALU_DEP_3)
	v_add_co_u32 v8, s0, v4, s8
	s_wait_alu 0xf1ff
	v_add_co_ci_u32_e64 v9, s0, s9, v5, s0
	v_mul_f64_e32 v[26:27], s[2:3], v[66:67]
	s_delay_alu instid0(VALU_DEP_3) | instskip(SKIP_1) | instid1(VALU_DEP_3)
	v_add_co_u32 v12, s0, v8, s6
	s_wait_alu 0xf1ff
	v_add_co_ci_u32_e64 v13, s0, s7, v9, s0
	s_delay_alu instid0(VALU_DEP_2) | instskip(SKIP_1) | instid1(VALU_DEP_2)
	v_add_co_u32 v20, s0, v12, s8
	s_wait_alu 0xf1ff
	v_add_co_ci_u32_e64 v21, s0, s9, v13, s0
	global_store_b128 v[4:5], v[0:3], off
	v_mul_f64_e32 v[0:1], s[2:3], v[28:29]
	v_mul_f64_e32 v[2:3], s[2:3], v[30:31]
	;; [unrolled: 1-line block ×3, first 2 shown]
	v_add_co_u32 v28, s0, v20, s6
	s_wait_alu 0xf1ff
	v_add_co_ci_u32_e64 v29, s0, s7, v21, s0
	v_mul_f64_e32 v[30:31], s[2:3], v[75:76]
	v_mul_f64_e32 v[36:37], s[2:3], v[81:82]
	global_store_b128 v[8:9], v[0:3], off
	v_mul_f64_e32 v[0:1], s[2:3], v[32:33]
	v_mul_f64_e32 v[2:3], s[2:3], v[34:35]
	;; [unrolled: 1-line block ×3, first 2 shown]
	v_add_co_u32 v40, s0, v28, s8
	s_wait_alu 0xf1ff
	v_add_co_ci_u32_e64 v41, s0, s9, v29, s0
	v_mul_f64_e32 v[32:33], s[2:3], v[77:78]
	s_delay_alu instid0(VALU_DEP_3) | instskip(SKIP_1) | instid1(VALU_DEP_3)
	v_add_co_u32 v42, s0, v40, s6
	s_wait_alu 0xf1ff
	v_add_co_ci_u32_e64 v43, s0, s7, v41, s0
	v_mul_f64_e32 v[34:35], s[2:3], v[79:80]
	global_store_b128 v[12:13], v[0:3], off
	global_store_b128 v[20:21], v[4:7], off
	v_mul_f64_e32 v[4:5], s[2:3], v[56:57]
	scratch_load_b32 v56, off, off offset:36 th:TH_LOAD_LU ; 4-byte Folded Reload
	v_mul_f64_e32 v[0:1], s[2:3], v[44:45]
	v_mul_f64_e32 v[2:3], s[2:3], v[46:47]
	v_add_co_u32 v44, s0, v42, s8
	s_wait_alu 0xf1ff
	v_add_co_ci_u32_e64 v45, s0, s9, v43, s0
	v_mul_f64_e32 v[12:13], s[2:3], v[48:49]
	s_delay_alu instid0(VALU_DEP_3) | instskip(SKIP_1) | instid1(VALU_DEP_3)
	v_add_co_u32 v46, s0, v44, s6
	s_wait_alu 0xf1ff
	v_add_co_ci_u32_e64 v47, s0, s7, v45, s0
	v_mul_f64_e32 v[6:7], s[2:3], v[58:59]
	s_delay_alu instid0(VALU_DEP_3) | instskip(SKIP_1) | instid1(VALU_DEP_3)
	;; [unrolled: 5-line block ×3, first 2 shown]
	v_add_co_u32 v50, s0, v48, s6
	s_wait_alu 0xf1ff
	v_add_co_ci_u32_e64 v51, s0, s7, v49, s0
	global_store_b128 v[28:29], v[8:11], off
	v_mul_f64_e32 v[8:9], s[2:3], v[68:69]
	v_mul_f64_e32 v[10:11], s[2:3], v[70:71]
	v_mad_co_u64_u32 v[54:55], null, 0x380, s4, v[50:51]
	v_mul_f64_e32 v[28:29], s[2:3], v[73:74]
	global_store_b128 v[40:41], v[0:3], off
	v_mov_b32_e32 v1, v55
	global_store_b128 v[42:43], v[12:15], off
	global_store_b128 v[44:45], v[16:19], off
	global_store_b128 v[46:47], v[4:7], off
	global_store_b128 v[48:49], v[20:23], off
	global_store_b128 v[50:51], v[24:27], off
	s_wait_loadcnt 0x0
	v_mad_co_u64_u32 v[52:53], null, s4, v56, 0
	s_delay_alu instid0(VALU_DEP_1) | instskip(NEXT) | instid1(VALU_DEP_1)
	v_mov_b32_e32 v0, v53
	v_mad_co_u64_u32 v[2:3], null, s5, v56, v[0:1]
	s_delay_alu instid0(VALU_DEP_1) | instskip(SKIP_2) | instid1(VALU_DEP_2)
	v_mov_b32_e32 v53, v2
	v_mad_co_u64_u32 v[0:1], null, 0x380, s5, v[1:2]
	v_add_co_u32 v2, s0, v54, s8
	v_mov_b32_e32 v55, v0
	s_delay_alu instid0(VALU_DEP_4) | instskip(SKIP_1) | instid1(VALU_DEP_2)
	v_lshlrev_b64_e32 v[0:1], 4, v[52:53]
	s_wait_alu 0xf1ff
	v_add_co_ci_u32_e64 v3, s0, s9, v55, s0
	s_delay_alu instid0(VALU_DEP_2) | instskip(SKIP_1) | instid1(VALU_DEP_3)
	v_add_co_u32 v4, s0, v85, v0
	s_wait_alu 0xf1ff
	v_add_co_ci_u32_e64 v5, s0, v86, v1, s0
	v_add_co_u32 v0, s0, v2, s6
	s_wait_alu 0xf1ff
	v_add_co_ci_u32_e64 v1, s0, s7, v3, s0
	global_store_b128 v[4:5], v[8:11], off
	global_store_b128 v[54:55], v[28:31], off
	;; [unrolled: 1-line block ×4, first 2 shown]
	s_and_b32 exec_lo, exec_lo, vcc_lo
	s_cbranch_execz .LBB0_31
; %bb.30:
	scratch_load_b64 v[16:17], off, off th:TH_LOAD_LU ; 8-byte Folded Reload
	s_wait_loadcnt 0x0
	global_load_b128 v[2:5], v[16:17], off offset:8960
	ds_load_b128 v[6:9], v72 offset:8960
	ds_load_b128 v[10:13], v72 offset:18368
	s_wait_loadcnt_dscnt 0x1
	v_mul_f64_e32 v[14:15], v[8:9], v[4:5]
	v_mul_f64_e32 v[4:5], v[6:7], v[4:5]
	s_delay_alu instid0(VALU_DEP_2) | instskip(NEXT) | instid1(VALU_DEP_2)
	v_fma_f64 v[6:7], v[6:7], v[2:3], v[14:15]
	v_fma_f64 v[4:5], v[2:3], v[8:9], -v[4:5]
	s_delay_alu instid0(VALU_DEP_2) | instskip(NEXT) | instid1(VALU_DEP_2)
	v_mul_f64_e32 v[2:3], s[2:3], v[6:7]
	v_mul_f64_e32 v[4:5], s[2:3], v[4:5]
	v_add_co_u32 v6, vcc_lo, v0, s8
	s_wait_alu 0xfffd
	v_add_co_ci_u32_e32 v7, vcc_lo, s9, v1, vcc_lo
	global_store_b128 v[6:7], v[2:5], off
	global_load_b128 v[0:3], v[16:17], off offset:18368
	s_wait_loadcnt_dscnt 0x0
	v_mul_f64_e32 v[4:5], v[12:13], v[2:3]
	v_mul_f64_e32 v[2:3], v[10:11], v[2:3]
	s_delay_alu instid0(VALU_DEP_2) | instskip(NEXT) | instid1(VALU_DEP_2)
	v_fma_f64 v[4:5], v[10:11], v[0:1], v[4:5]
	v_fma_f64 v[2:3], v[0:1], v[12:13], -v[2:3]
	s_delay_alu instid0(VALU_DEP_2) | instskip(NEXT) | instid1(VALU_DEP_2)
	v_mul_f64_e32 v[0:1], s[2:3], v[4:5]
	v_mul_f64_e32 v[2:3], s[2:3], v[2:3]
	v_add_co_u32 v4, vcc_lo, v6, s6
	s_wait_alu 0xfffd
	v_add_co_ci_u32_e32 v5, vcc_lo, s7, v7, vcc_lo
	global_store_b128 v[4:5], v[0:3], off
.LBB0_31:
	s_nop 0
	s_sendmsg sendmsg(MSG_DEALLOC_VGPRS)
	s_endpgm
	.section	.rodata,"a",@progbits
	.p2align	6, 0x0
	.amdhsa_kernel bluestein_single_back_len1176_dim1_dp_op_CI_CI
		.amdhsa_group_segment_fixed_size 18816
		.amdhsa_private_segment_fixed_size 736
		.amdhsa_kernarg_size 104
		.amdhsa_user_sgpr_count 2
		.amdhsa_user_sgpr_dispatch_ptr 0
		.amdhsa_user_sgpr_queue_ptr 0
		.amdhsa_user_sgpr_kernarg_segment_ptr 1
		.amdhsa_user_sgpr_dispatch_id 0
		.amdhsa_user_sgpr_private_segment_size 0
		.amdhsa_wavefront_size32 1
		.amdhsa_uses_dynamic_stack 0
		.amdhsa_enable_private_segment 1
		.amdhsa_system_sgpr_workgroup_id_x 1
		.amdhsa_system_sgpr_workgroup_id_y 0
		.amdhsa_system_sgpr_workgroup_id_z 0
		.amdhsa_system_sgpr_workgroup_info 0
		.amdhsa_system_vgpr_workitem_id 0
		.amdhsa_next_free_vgpr 256
		.amdhsa_next_free_sgpr 30
		.amdhsa_reserve_vcc 1
		.amdhsa_float_round_mode_32 0
		.amdhsa_float_round_mode_16_64 0
		.amdhsa_float_denorm_mode_32 3
		.amdhsa_float_denorm_mode_16_64 3
		.amdhsa_fp16_overflow 0
		.amdhsa_workgroup_processor_mode 1
		.amdhsa_memory_ordered 1
		.amdhsa_forward_progress 0
		.amdhsa_round_robin_scheduling 0
		.amdhsa_exception_fp_ieee_invalid_op 0
		.amdhsa_exception_fp_denorm_src 0
		.amdhsa_exception_fp_ieee_div_zero 0
		.amdhsa_exception_fp_ieee_overflow 0
		.amdhsa_exception_fp_ieee_underflow 0
		.amdhsa_exception_fp_ieee_inexact 0
		.amdhsa_exception_int_div_zero 0
	.end_amdhsa_kernel
	.text
.Lfunc_end0:
	.size	bluestein_single_back_len1176_dim1_dp_op_CI_CI, .Lfunc_end0-bluestein_single_back_len1176_dim1_dp_op_CI_CI
                                        ; -- End function
	.section	.AMDGPU.csdata,"",@progbits
; Kernel info:
; codeLenInByte = 29180
; NumSgprs: 32
; NumVgprs: 256
; ScratchSize: 736
; MemoryBound: 0
; FloatMode: 240
; IeeeMode: 1
; LDSByteSize: 18816 bytes/workgroup (compile time only)
; SGPRBlocks: 3
; VGPRBlocks: 31
; NumSGPRsForWavesPerEU: 32
; NumVGPRsForWavesPerEU: 256
; Occupancy: 3
; WaveLimiterHint : 1
; COMPUTE_PGM_RSRC2:SCRATCH_EN: 1
; COMPUTE_PGM_RSRC2:USER_SGPR: 2
; COMPUTE_PGM_RSRC2:TRAP_HANDLER: 0
; COMPUTE_PGM_RSRC2:TGID_X_EN: 1
; COMPUTE_PGM_RSRC2:TGID_Y_EN: 0
; COMPUTE_PGM_RSRC2:TGID_Z_EN: 0
; COMPUTE_PGM_RSRC2:TIDIG_COMP_CNT: 0
	.text
	.p2alignl 7, 3214868480
	.fill 96, 4, 3214868480
	.type	__hip_cuid_d809b7614e1ac0fc,@object ; @__hip_cuid_d809b7614e1ac0fc
	.section	.bss,"aw",@nobits
	.globl	__hip_cuid_d809b7614e1ac0fc
__hip_cuid_d809b7614e1ac0fc:
	.byte	0                               ; 0x0
	.size	__hip_cuid_d809b7614e1ac0fc, 1

	.ident	"AMD clang version 19.0.0git (https://github.com/RadeonOpenCompute/llvm-project roc-6.4.0 25133 c7fe45cf4b819c5991fe208aaa96edf142730f1d)"
	.section	".note.GNU-stack","",@progbits
	.addrsig
	.addrsig_sym __hip_cuid_d809b7614e1ac0fc
	.amdgpu_metadata
---
amdhsa.kernels:
  - .args:
      - .actual_access:  read_only
        .address_space:  global
        .offset:         0
        .size:           8
        .value_kind:     global_buffer
      - .actual_access:  read_only
        .address_space:  global
        .offset:         8
        .size:           8
        .value_kind:     global_buffer
      - .actual_access:  read_only
        .address_space:  global
        .offset:         16
        .size:           8
        .value_kind:     global_buffer
      - .actual_access:  read_only
        .address_space:  global
        .offset:         24
        .size:           8
        .value_kind:     global_buffer
      - .actual_access:  read_only
        .address_space:  global
        .offset:         32
        .size:           8
        .value_kind:     global_buffer
      - .offset:         40
        .size:           8
        .value_kind:     by_value
      - .address_space:  global
        .offset:         48
        .size:           8
        .value_kind:     global_buffer
      - .address_space:  global
        .offset:         56
        .size:           8
        .value_kind:     global_buffer
      - .address_space:  global
        .offset:         64
        .size:           8
        .value_kind:     global_buffer
      - .address_space:  global
        .offset:         72
        .size:           8
        .value_kind:     global_buffer
      - .offset:         80
        .size:           4
        .value_kind:     by_value
      - .address_space:  global
        .offset:         88
        .size:           8
        .value_kind:     global_buffer
      - .address_space:  global
        .offset:         96
        .size:           8
        .value_kind:     global_buffer
    .group_segment_fixed_size: 18816
    .kernarg_segment_align: 8
    .kernarg_segment_size: 104
    .language:       OpenCL C
    .language_version:
      - 2
      - 0
    .max_flat_workgroup_size: 56
    .name:           bluestein_single_back_len1176_dim1_dp_op_CI_CI
    .private_segment_fixed_size: 736
    .sgpr_count:     32
    .sgpr_spill_count: 0
    .symbol:         bluestein_single_back_len1176_dim1_dp_op_CI_CI.kd
    .uniform_work_group_size: 1
    .uses_dynamic_stack: false
    .vgpr_count:     256
    .vgpr_spill_count: 187
    .wavefront_size: 32
    .workgroup_processor_mode: 1
amdhsa.target:   amdgcn-amd-amdhsa--gfx1201
amdhsa.version:
  - 1
  - 2
...

	.end_amdgpu_metadata
